;; amdgpu-corpus repo=ROCm/rocFFT kind=compiled arch=gfx950 opt=O3
	.text
	.amdgcn_target "amdgcn-amd-amdhsa--gfx950"
	.amdhsa_code_object_version 6
	.protected	fft_rtc_back_len3200_factors_10_10_4_4_2_wgs_160_tpt_160_halfLds_dp_op_CI_CI_unitstride_sbrr_dirReg ; -- Begin function fft_rtc_back_len3200_factors_10_10_4_4_2_wgs_160_tpt_160_halfLds_dp_op_CI_CI_unitstride_sbrr_dirReg
	.globl	fft_rtc_back_len3200_factors_10_10_4_4_2_wgs_160_tpt_160_halfLds_dp_op_CI_CI_unitstride_sbrr_dirReg
	.p2align	8
	.type	fft_rtc_back_len3200_factors_10_10_4_4_2_wgs_160_tpt_160_halfLds_dp_op_CI_CI_unitstride_sbrr_dirReg,@function
fft_rtc_back_len3200_factors_10_10_4_4_2_wgs_160_tpt_160_halfLds_dp_op_CI_CI_unitstride_sbrr_dirReg: ; @fft_rtc_back_len3200_factors_10_10_4_4_2_wgs_160_tpt_160_halfLds_dp_op_CI_CI_unitstride_sbrr_dirReg
; %bb.0:
	s_load_dwordx4 s[4:7], s[0:1], 0x58
	s_load_dwordx4 s[8:11], s[0:1], 0x0
	;; [unrolled: 1-line block ×3, first 2 shown]
	v_mul_u32_u24_e32 v1, 0x19a, v0
	v_add_u32_sdwa v6, s2, v1 dst_sel:DWORD dst_unused:UNUSED_PAD src0_sel:DWORD src1_sel:WORD_1
	v_mov_b32_e32 v2, 0
	s_waitcnt lgkmcnt(0)
	v_cmp_lt_u64_e64 s[2:3], s[10:11], 2
	v_mov_b32_e32 v7, v2
	s_and_b64 vcc, exec, s[2:3]
	v_mov_b64_e32 v[4:5], 0
	s_cbranch_vccnz .LBB0_8
; %bb.1:
	s_load_dwordx2 s[2:3], s[0:1], 0x10
	s_add_u32 s16, s14, 8
	s_addc_u32 s17, s15, 0
	s_add_u32 s18, s12, 8
	s_addc_u32 s19, s13, 0
	s_waitcnt lgkmcnt(0)
	s_add_u32 s20, s2, 8
	v_mov_b64_e32 v[4:5], 0
	s_addc_u32 s21, s3, 0
	s_mov_b64 s[22:23], 1
	v_mov_b64_e32 v[80:81], v[4:5]
.LBB0_2:                                ; =>This Inner Loop Header: Depth=1
	s_load_dwordx2 s[24:25], s[20:21], 0x0
                                        ; implicit-def: $vgpr84_vgpr85
	s_waitcnt lgkmcnt(0)
	v_or_b32_e32 v3, s25, v7
	v_cmp_ne_u64_e32 vcc, 0, v[2:3]
	s_and_saveexec_b64 s[2:3], vcc
	s_xor_b64 s[26:27], exec, s[2:3]
	s_cbranch_execz .LBB0_4
; %bb.3:                                ;   in Loop: Header=BB0_2 Depth=1
	v_cvt_f32_u32_e32 v1, s24
	v_cvt_f32_u32_e32 v3, s25
	s_sub_u32 s2, 0, s24
	s_subb_u32 s3, 0, s25
	v_fmac_f32_e32 v1, 0x4f800000, v3
	v_rcp_f32_e32 v1, v1
	s_nop 0
	v_mul_f32_e32 v1, 0x5f7ffffc, v1
	v_mul_f32_e32 v3, 0x2f800000, v1
	v_trunc_f32_e32 v3, v3
	v_fmac_f32_e32 v1, 0xcf800000, v3
	v_cvt_u32_f32_e32 v3, v3
	v_cvt_u32_f32_e32 v1, v1
	v_mul_lo_u32 v8, s2, v3
	v_mul_hi_u32 v10, s2, v1
	v_mul_lo_u32 v9, s3, v1
	v_add_u32_e32 v10, v10, v8
	v_mul_lo_u32 v12, s2, v1
	v_add_u32_e32 v13, v10, v9
	v_mul_hi_u32 v8, v1, v12
	v_mul_hi_u32 v11, v1, v13
	v_mul_lo_u32 v10, v1, v13
	v_mov_b32_e32 v9, v2
	v_lshl_add_u64 v[8:9], v[8:9], 0, v[10:11]
	v_mul_hi_u32 v11, v3, v12
	v_mul_lo_u32 v12, v3, v12
	v_add_co_u32_e32 v8, vcc, v8, v12
	v_mul_hi_u32 v10, v3, v13
	s_nop 0
	v_addc_co_u32_e32 v8, vcc, v9, v11, vcc
	v_mov_b32_e32 v9, v2
	s_nop 0
	v_addc_co_u32_e32 v11, vcc, 0, v10, vcc
	v_mul_lo_u32 v10, v3, v13
	v_lshl_add_u64 v[8:9], v[8:9], 0, v[10:11]
	v_add_co_u32_e32 v1, vcc, v1, v8
	v_mul_lo_u32 v10, s2, v1
	s_nop 0
	v_addc_co_u32_e32 v3, vcc, v3, v9, vcc
	v_mul_lo_u32 v8, s2, v3
	v_mul_hi_u32 v9, s2, v1
	v_add_u32_e32 v8, v9, v8
	v_mul_lo_u32 v9, s3, v1
	v_add_u32_e32 v12, v8, v9
	v_mul_hi_u32 v14, v3, v10
	v_mul_lo_u32 v15, v3, v10
	v_mul_hi_u32 v9, v1, v12
	v_mul_lo_u32 v8, v1, v12
	v_mul_hi_u32 v10, v1, v10
	v_mov_b32_e32 v11, v2
	v_lshl_add_u64 v[8:9], v[10:11], 0, v[8:9]
	v_add_co_u32_e32 v8, vcc, v8, v15
	v_mul_hi_u32 v13, v3, v12
	s_nop 0
	v_addc_co_u32_e32 v8, vcc, v9, v14, vcc
	v_mul_lo_u32 v10, v3, v12
	s_nop 0
	v_addc_co_u32_e32 v11, vcc, 0, v13, vcc
	v_mov_b32_e32 v9, v2
	v_lshl_add_u64 v[8:9], v[8:9], 0, v[10:11]
	v_add_co_u32_e32 v1, vcc, v1, v8
	v_mul_hi_u32 v10, v6, v1
	s_nop 0
	v_addc_co_u32_e32 v3, vcc, v3, v9, vcc
	v_mad_u64_u32 v[8:9], s[2:3], v6, v3, 0
	v_mov_b32_e32 v11, v2
	v_lshl_add_u64 v[8:9], v[10:11], 0, v[8:9]
	v_mad_u64_u32 v[12:13], s[2:3], v7, v1, 0
	v_add_co_u32_e32 v1, vcc, v8, v12
	v_mad_u64_u32 v[10:11], s[2:3], v7, v3, 0
	s_nop 0
	v_addc_co_u32_e32 v8, vcc, v9, v13, vcc
	v_mov_b32_e32 v9, v2
	s_nop 0
	v_addc_co_u32_e32 v11, vcc, 0, v11, vcc
	v_lshl_add_u64 v[8:9], v[8:9], 0, v[10:11]
	v_mul_lo_u32 v1, s25, v8
	v_mul_lo_u32 v3, s24, v9
	v_mad_u64_u32 v[10:11], s[2:3], s24, v8, 0
	v_add3_u32 v1, v11, v3, v1
	v_sub_u32_e32 v3, v7, v1
	v_mov_b32_e32 v11, s25
	v_sub_co_u32_e32 v14, vcc, v6, v10
	v_lshl_add_u64 v[12:13], v[8:9], 0, 1
	s_nop 0
	v_subb_co_u32_e64 v3, s[2:3], v3, v11, vcc
	v_subrev_co_u32_e64 v10, s[2:3], s24, v14
	v_subb_co_u32_e32 v1, vcc, v7, v1, vcc
	s_nop 0
	v_subbrev_co_u32_e64 v3, s[2:3], 0, v3, s[2:3]
	v_cmp_le_u32_e64 s[2:3], s25, v3
	v_cmp_le_u32_e32 vcc, s25, v1
	s_nop 0
	v_cndmask_b32_e64 v11, 0, -1, s[2:3]
	v_cmp_le_u32_e64 s[2:3], s24, v10
	s_nop 1
	v_cndmask_b32_e64 v10, 0, -1, s[2:3]
	v_cmp_eq_u32_e64 s[2:3], s25, v3
	s_nop 1
	v_cndmask_b32_e64 v3, v11, v10, s[2:3]
	v_lshl_add_u64 v[10:11], v[8:9], 0, 2
	v_cmp_ne_u32_e64 s[2:3], 0, v3
	s_nop 1
	v_cndmask_b32_e64 v3, v13, v11, s[2:3]
	v_cndmask_b32_e64 v11, 0, -1, vcc
	v_cmp_le_u32_e32 vcc, s24, v14
	s_nop 1
	v_cndmask_b32_e64 v13, 0, -1, vcc
	v_cmp_eq_u32_e32 vcc, s25, v1
	s_nop 1
	v_cndmask_b32_e32 v1, v11, v13, vcc
	v_cmp_ne_u32_e32 vcc, 0, v1
	v_cndmask_b32_e64 v1, v12, v10, s[2:3]
	s_nop 0
	v_cndmask_b32_e32 v85, v9, v3, vcc
	v_cndmask_b32_e32 v84, v8, v1, vcc
.LBB0_4:                                ;   in Loop: Header=BB0_2 Depth=1
	s_andn2_saveexec_b64 s[2:3], s[26:27]
	s_cbranch_execz .LBB0_6
; %bb.5:                                ;   in Loop: Header=BB0_2 Depth=1
	v_cvt_f32_u32_e32 v1, s24
	s_sub_i32 s26, 0, s24
	v_mov_b32_e32 v85, v2
	v_rcp_iflag_f32_e32 v1, v1
	s_nop 0
	v_mul_f32_e32 v1, 0x4f7ffffe, v1
	v_cvt_u32_f32_e32 v1, v1
	v_mul_lo_u32 v3, s26, v1
	v_mul_hi_u32 v3, v1, v3
	v_add_u32_e32 v1, v1, v3
	v_mul_hi_u32 v1, v6, v1
	v_mul_lo_u32 v3, v1, s24
	v_sub_u32_e32 v3, v6, v3
	v_add_u32_e32 v8, 1, v1
	v_subrev_u32_e32 v9, s24, v3
	v_cmp_le_u32_e32 vcc, s24, v3
	s_nop 1
	v_cndmask_b32_e32 v3, v3, v9, vcc
	v_cndmask_b32_e32 v1, v1, v8, vcc
	v_add_u32_e32 v8, 1, v1
	v_cmp_le_u32_e32 vcc, s24, v3
	s_nop 1
	v_cndmask_b32_e32 v84, v1, v8, vcc
.LBB0_6:                                ;   in Loop: Header=BB0_2 Depth=1
	s_or_b64 exec, exec, s[2:3]
	v_mad_u64_u32 v[8:9], s[2:3], v84, s24, 0
	s_load_dwordx2 s[2:3], s[18:19], 0x0
	v_mul_lo_u32 v1, v85, s24
	v_mul_lo_u32 v3, v84, s25
	s_load_dwordx2 s[24:25], s[16:17], 0x0
	s_add_u32 s22, s22, 1
	v_add3_u32 v1, v9, v3, v1
	v_sub_co_u32_e32 v3, vcc, v6, v8
	s_addc_u32 s23, s23, 0
	s_nop 0
	v_subb_co_u32_e32 v1, vcc, v7, v1, vcc
	s_add_u32 s16, s16, 8
	s_waitcnt lgkmcnt(0)
	v_mul_lo_u32 v6, s2, v1
	v_mul_lo_u32 v7, s3, v3
	v_mad_u64_u32 v[4:5], s[2:3], s2, v3, v[4:5]
	s_addc_u32 s17, s17, 0
	v_add3_u32 v5, v7, v5, v6
	v_mul_lo_u32 v1, s24, v1
	v_mul_lo_u32 v6, s25, v3
	v_mad_u64_u32 v[80:81], s[2:3], s24, v3, v[80:81]
	s_add_u32 s18, s18, 8
	v_add3_u32 v81, v6, v81, v1
	s_addc_u32 s19, s19, 0
	v_mov_b64_e32 v[6:7], s[10:11]
	s_add_u32 s20, s20, 8
	v_cmp_ge_u64_e32 vcc, s[22:23], v[6:7]
	s_addc_u32 s21, s21, 0
	s_cbranch_vccnz .LBB0_9
; %bb.7:                                ;   in Loop: Header=BB0_2 Depth=1
	v_mov_b64_e32 v[6:7], v[84:85]
	s_branch .LBB0_2
.LBB0_8:
	v_mov_b64_e32 v[80:81], v[4:5]
	v_mov_b64_e32 v[84:85], v[6:7]
.LBB0_9:
	s_load_dwordx2 s[0:1], s[0:1], 0x28
	s_lshl_b64 s[16:17], s[10:11], 3
	s_add_u32 s2, s14, s16
	s_addc_u32 s3, s15, s17
                                        ; implicit-def: $vgpr82
                                        ; implicit-def: $vgpr86
	s_waitcnt lgkmcnt(0)
	v_cmp_gt_u64_e32 vcc, s[0:1], v[84:85]
	v_cmp_le_u64_e64 s[0:1], s[0:1], v[84:85]
	s_and_saveexec_b64 s[10:11], s[0:1]
	s_xor_b64 s[0:1], exec, s[10:11]
; %bb.10:
	s_mov_b32 s10, 0x199999a
	v_mul_hi_u32 v1, v0, s10
	v_mul_u32_u24_e32 v1, 0xa0, v1
	v_sub_u32_e32 v82, v0, v1
	v_or_b32_e32 v86, 0x500, v82
                                        ; implicit-def: $vgpr0
                                        ; implicit-def: $vgpr4_vgpr5
; %bb.11:
	s_or_saveexec_b64 s[10:11], s[0:1]
                                        ; implicit-def: $vgpr46_vgpr47
                                        ; implicit-def: $vgpr70_vgpr71
                                        ; implicit-def: $vgpr58_vgpr59
                                        ; implicit-def: $vgpr74_vgpr75
                                        ; implicit-def: $vgpr62_vgpr63
                                        ; implicit-def: $vgpr2_vgpr3
                                        ; implicit-def: $vgpr10_vgpr11
                                        ; implicit-def: $vgpr30_vgpr31
                                        ; implicit-def: $vgpr14_vgpr15
                                        ; implicit-def: $vgpr42_vgpr43
                                        ; implicit-def: $vgpr22_vgpr23
                                        ; implicit-def: $vgpr34_vgpr35
                                        ; implicit-def: $vgpr18_vgpr19
                                        ; implicit-def: $vgpr26_vgpr27
                                        ; implicit-def: $vgpr6_vgpr7
                                        ; implicit-def: $vgpr78_vgpr79
                                        ; implicit-def: $vgpr66_vgpr67
                                        ; implicit-def: $vgpr54_vgpr55
                                        ; implicit-def: $vgpr50_vgpr51
                                        ; implicit-def: $vgpr38_vgpr39
	s_xor_b64 exec, exec, s[10:11]
	s_cbranch_execz .LBB0_13
; %bb.12:
	s_add_u32 s0, s12, s16
	s_addc_u32 s1, s13, s17
	s_load_dwordx2 s[0:1], s[0:1], 0x0
	s_mov_b32 s12, 0x199999a
	s_waitcnt lgkmcnt(0)
	v_mul_lo_u32 v1, s1, v84
	v_mul_lo_u32 v6, s0, v85
	v_mad_u64_u32 v[2:3], s[0:1], s0, v84, 0
	v_add3_u32 v3, v3, v6, v1
	v_mul_hi_u32 v1, v0, s12
	v_mul_u32_u24_e32 v1, 0xa0, v1
	v_sub_u32_e32 v82, v0, v1
	v_lshl_add_u64 v[0:1], v[2:3], 4, s[4:5]
	v_lshl_add_u64 v[0:1], v[4:5], 4, v[0:1]
	v_lshlrev_b32_e32 v2, 4, v82
	v_mov_b32_e32 v3, 0
	v_lshl_add_u64 v[8:9], v[0:1], 0, v[2:3]
	s_movk_i32 s0, 0x1000
	v_add_co_u32_e64 v10, s[0:1], s0, v8
	v_or_b32_e32 v86, 0x500, v82
	s_nop 0
	v_addc_co_u32_e64 v11, s[0:1], 0, v9, s[0:1]
	s_movk_i32 s0, 0x2000
	s_nop 0
	v_add_co_u32_e64 v12, s[0:1], s0, v8
	v_lshlrev_b32_e32 v4, 4, v86
	s_nop 0
	v_addc_co_u32_e64 v13, s[0:1], 0, v9, s[0:1]
	s_movk_i32 s0, 0x3000
	s_nop 0
	v_add_co_u32_e64 v14, s[0:1], s0, v8
	v_mov_b32_e32 v5, v3
	s_nop 0
	v_addc_co_u32_e64 v15, s[0:1], 0, v9, s[0:1]
	s_movk_i32 s0, 0x6000
	s_nop 0
	v_add_co_u32_e64 v88, s[0:1], s0, v8
	s_mov_b32 s4, 0xa000
	s_nop 0
	v_addc_co_u32_e64 v89, s[0:1], 0, v9, s[0:1]
	s_movk_i32 s0, 0x7000
	s_nop 0
	v_add_co_u32_e64 v90, s[0:1], s0, v8
	v_lshl_add_u64 v[4:5], v[0:1], 0, v[4:5]
	s_nop 0
	v_addc_co_u32_e64 v91, s[0:1], 0, v9, s[0:1]
	s_mov_b32 s0, 0x8000
	s_nop 0
	v_add_co_u32_e64 v92, s[0:1], s0, v8
	v_or_b32_e32 v2, 0xa000, v2
	s_nop 0
	v_addc_co_u32_e64 v93, s[0:1], 0, v9, s[0:1]
	s_mov_b32 s0, 0xb000
	s_nop 0
	v_add_co_u32_e64 v96, s[0:1], s0, v8
	global_load_dwordx4 v[48:51], v[14:15], off offset:3072
	global_load_dwordx4 v[52:55], v[4:5], off
	v_addc_co_u32_e64 v97, s[0:1], 0, v9, s[0:1]
	s_movk_i32 s0, 0x4000
	s_nop 0
	v_add_co_u32_e64 v98, s[0:1], s0, v8
	v_lshl_add_u64 v[94:95], v[0:1], 0, v[2:3]
	s_nop 0
	v_addc_co_u32_e64 v99, s[0:1], 0, v9, s[0:1]
	s_movk_i32 s0, 0x5000
	s_nop 0
	v_add_co_u32_e64 v100, s[0:1], s0, v8
	global_load_dwordx4 v[36:39], v[8:9], off
	global_load_dwordx4 v[0:3], v[8:9], off offset:2560
	global_load_dwordx4 v[44:47], v[10:11], off offset:1024
	;; [unrolled: 1-line block ×5, first 2 shown]
	v_addc_co_u32_e64 v101, s[0:1], 0, v9, s[0:1]
	s_mov_b32 s0, 0x9000
	s_nop 0
	v_add_co_u32_e64 v102, s[0:1], s0, v8
	s_nop 1
	v_addc_co_u32_e64 v103, s[0:1], 0, v9, s[0:1]
	v_add_co_u32_e64 v104, s[0:1], s4, v8
	s_nop 1
	v_addc_co_u32_e64 v105, s[0:1], 0, v9, s[0:1]
	global_load_dwordx4 v[8:11], v[98:99], off offset:1536
	global_load_dwordx4 v[28:31], v[100:101], off offset:2560
	;; [unrolled: 1-line block ×4, first 2 shown]
	global_load_dwordx4 v[76:79], v[94:95], off
	global_load_dwordx4 v[64:67], v[92:93], off offset:3072
	global_load_dwordx4 v[72:75], v[90:91], off offset:2048
	;; [unrolled: 1-line block ×7, first 2 shown]
.LBB0_13:
	s_or_b64 exec, exec, s[10:11]
	s_waitcnt vmcnt(13)
	v_add_f64 v[88:89], v[68:69], v[36:37]
	v_add_f64 v[88:89], v[52:53], v[88:89]
	s_waitcnt vmcnt(5)
	v_add_f64 v[88:89], v[72:73], v[88:89]
	v_add_f64 v[90:91], v[76:77], v[88:89]
	;; [unrolled: 1-line block ×3, first 2 shown]
	s_mov_b32 s0, 0x134454ff
	v_fma_f64 v[88:89], -0.5, v[88:89], v[36:37]
	v_add_f64 v[96:97], v[70:71], -v[78:79]
	s_mov_b32 s1, 0xbfee6f0e
	s_mov_b32 s4, 0x4755a5e
	s_mov_b32 s11, 0x3fee6f0e
	s_mov_b32 s10, s0
	v_fma_f64 v[92:93], s[0:1], v[96:97], v[88:89]
	v_add_f64 v[98:99], v[54:55], -v[74:75]
	s_mov_b32 s5, 0xbfe2cf23
	v_add_f64 v[94:95], v[68:69], -v[52:53]
	v_add_f64 v[100:101], v[76:77], -v[72:73]
	s_mov_b32 s14, 0x372fe950
	v_fmac_f64_e32 v[88:89], s[10:11], v[96:97]
	s_mov_b32 s13, 0x3fe2cf23
	s_mov_b32 s12, s4
	v_fmac_f64_e32 v[92:93], s[4:5], v[98:99]
	v_add_f64 v[94:95], v[100:101], v[94:95]
	s_mov_b32 s15, 0x3fd3c6ef
	v_fmac_f64_e32 v[88:89], s[12:13], v[98:99]
	v_fmac_f64_e32 v[92:93], s[14:15], v[94:95]
	;; [unrolled: 1-line block ×3, first 2 shown]
	v_add_f64 v[94:95], v[68:69], v[76:77]
	v_fmac_f64_e32 v[36:37], -0.5, v[94:95]
	v_fma_f64 v[94:95], s[10:11], v[98:99], v[36:37]
	v_fmac_f64_e32 v[36:37], s[0:1], v[98:99]
	v_fmac_f64_e32 v[94:95], s[4:5], v[96:97]
	;; [unrolled: 1-line block ×3, first 2 shown]
	v_add_f64 v[96:97], v[70:71], v[38:39]
	v_add_f64 v[100:101], v[52:53], -v[68:69]
	v_add_f64 v[102:103], v[72:73], -v[76:77]
	v_add_f64 v[96:97], v[54:55], v[96:97]
	v_add_f64 v[100:101], v[102:103], v[100:101]
	;; [unrolled: 1-line block ×3, first 2 shown]
	v_fmac_f64_e32 v[94:95], s[14:15], v[100:101]
	v_fmac_f64_e32 v[36:37], s[14:15], v[100:101]
	v_add_f64 v[100:101], v[78:79], v[96:97]
	v_add_f64 v[96:97], v[74:75], v[54:55]
	v_fma_f64 v[96:97], -0.5, v[96:97], v[38:39]
	v_add_f64 v[68:69], v[68:69], -v[76:77]
	v_fma_f64 v[98:99], s[10:11], v[68:69], v[96:97]
	v_add_f64 v[52:53], v[52:53], -v[72:73]
	v_add_f64 v[72:73], v[70:71], -v[54:55]
	;; [unrolled: 1-line block ×3, first 2 shown]
	v_fmac_f64_e32 v[96:97], s[0:1], v[68:69]
	v_fmac_f64_e32 v[98:99], s[12:13], v[52:53]
	v_add_f64 v[72:73], v[76:77], v[72:73]
	v_fmac_f64_e32 v[96:97], s[4:5], v[52:53]
	v_fmac_f64_e32 v[98:99], s[14:15], v[72:73]
	;; [unrolled: 1-line block ×3, first 2 shown]
	v_add_f64 v[72:73], v[70:71], v[78:79]
	v_fmac_f64_e32 v[38:39], -0.5, v[72:73]
	v_fma_f64 v[102:103], s[0:1], v[52:53], v[38:39]
	v_fmac_f64_e32 v[38:39], s[10:11], v[52:53]
	v_add_f64 v[52:53], v[44:45], v[48:49]
	v_add_f64 v[52:53], v[56:57], v[52:53]
	v_add_f64 v[54:55], v[54:55], -v[70:71]
	v_add_f64 v[70:71], v[74:75], -v[78:79]
	v_add_f64 v[52:53], v[64:65], v[52:53]
	v_add_f64 v[54:55], v[70:71], v[54:55]
	s_waitcnt vmcnt(1)
	v_add_f64 v[70:71], v[60:61], v[52:53]
	v_add_f64 v[52:53], v[56:57], v[64:65]
	v_fmac_f64_e32 v[102:103], s[12:13], v[68:69]
	v_fmac_f64_e32 v[38:39], s[4:5], v[68:69]
	v_fma_f64 v[72:73], -0.5, v[52:53], v[44:45]
	v_add_f64 v[52:53], v[50:51], -v[62:63]
	v_fmac_f64_e32 v[102:103], s[14:15], v[54:55]
	v_fmac_f64_e32 v[38:39], s[14:15], v[54:55]
	v_fma_f64 v[54:55], s[0:1], v[52:53], v[72:73]
	v_add_f64 v[68:69], v[58:59], -v[66:67]
	v_add_f64 v[74:75], v[48:49], -v[56:57]
	;; [unrolled: 1-line block ×3, first 2 shown]
	v_fmac_f64_e32 v[72:73], s[10:11], v[52:53]
	v_fmac_f64_e32 v[54:55], s[4:5], v[68:69]
	v_add_f64 v[74:75], v[76:77], v[74:75]
	v_fmac_f64_e32 v[72:73], s[12:13], v[68:69]
	v_fmac_f64_e32 v[54:55], s[14:15], v[74:75]
	v_fmac_f64_e32 v[72:73], s[14:15], v[74:75]
	v_add_f64 v[74:75], v[60:61], v[48:49]
	v_fmac_f64_e32 v[44:45], -0.5, v[74:75]
	v_fma_f64 v[74:75], s[10:11], v[68:69], v[44:45]
	v_fmac_f64_e32 v[44:45], s[0:1], v[68:69]
	v_fmac_f64_e32 v[74:75], s[4:5], v[52:53]
	;; [unrolled: 1-line block ×3, first 2 shown]
	v_add_f64 v[52:53], v[46:47], v[50:51]
	v_add_f64 v[52:53], v[58:59], v[52:53]
	v_add_f64 v[76:77], v[56:57], -v[48:49]
	v_add_f64 v[78:79], v[64:65], -v[60:61]
	v_add_f64 v[52:53], v[66:67], v[52:53]
	v_add_f64 v[76:77], v[78:79], v[76:77]
	;; [unrolled: 1-line block ×4, first 2 shown]
	v_fmac_f64_e32 v[74:75], s[14:15], v[76:77]
	v_fmac_f64_e32 v[44:45], s[14:15], v[76:77]
	v_fma_f64 v[76:77], -0.5, v[52:53], v[46:47]
	v_add_f64 v[48:49], v[48:49], -v[60:61]
	v_fma_f64 v[52:53], s[10:11], v[48:49], v[76:77]
	v_add_f64 v[56:57], v[56:57], -v[64:65]
	v_add_f64 v[60:61], v[50:51], -v[58:59]
	v_add_f64 v[64:65], v[62:63], -v[66:67]
	v_fmac_f64_e32 v[76:77], s[0:1], v[48:49]
	v_fmac_f64_e32 v[52:53], s[12:13], v[56:57]
	v_add_f64 v[60:61], v[64:65], v[60:61]
	v_fmac_f64_e32 v[76:77], s[4:5], v[56:57]
	v_fmac_f64_e32 v[52:53], s[14:15], v[60:61]
	;; [unrolled: 1-line block ×3, first 2 shown]
	v_add_f64 v[60:61], v[62:63], v[50:51]
	v_fmac_f64_e32 v[46:47], -0.5, v[60:61]
	v_fma_f64 v[64:65], s[0:1], v[56:57], v[46:47]
	v_add_f64 v[50:51], v[58:59], -v[50:51]
	v_add_f64 v[58:59], v[66:67], -v[62:63]
	v_fmac_f64_e32 v[64:65], s[12:13], v[48:49]
	v_add_f64 v[50:51], v[58:59], v[50:51]
	s_mov_b32 s16, 0x9b97f4a8
	v_fmac_f64_e32 v[64:65], s[14:15], v[50:51]
	s_mov_b32 s17, 0x3fe9e377
	v_mul_f64 v[108:109], v[76:77], s[4:5]
	s_mov_b32 s21, 0xbfe9e377
	s_mov_b32 s20, s16
	v_fmac_f64_e32 v[46:47], s[10:11], v[56:57]
	v_mul_f64 v[78:79], v[64:65], s[0:1]
	v_fmac_f64_e32 v[108:109], s[20:21], v[72:73]
	v_fmac_f64_e32 v[46:47], s[4:5], v[48:49]
	;; [unrolled: 1-line block ×3, first 2 shown]
	v_add_f64 v[68:69], v[88:89], v[108:109]
	v_mul_f64 v[112:113], v[74:75], s[10:11]
	v_add_f64 v[74:75], v[88:89], -v[108:109]
	v_add_f64 v[88:89], v[0:1], v[24:25]
	v_fmac_f64_e32 v[46:47], s[14:15], v[50:51]
	s_mov_b32 s19, 0xbfd3c6ef
	s_mov_b32 s18, s14
	v_add_f64 v[88:89], v[28:29], v[88:89]
	v_mul_f64 v[106:107], v[46:47], s[0:1]
	v_mul_f64 v[114:115], v[46:47], s[18:19]
	;; [unrolled: 1-line block ×3, first 2 shown]
	v_add_f64 v[88:89], v[32:33], v[88:89]
	v_add_f64 v[56:57], v[70:71], v[90:91]
	v_mul_f64 v[66:67], v[52:53], s[4:5]
	v_fmac_f64_e32 v[106:107], s[18:19], v[44:45]
	v_mul_f64 v[110:111], v[52:53], s[16:17]
	v_fmac_f64_e32 v[114:115], s[10:11], v[44:45]
	v_fmac_f64_e32 v[116:117], s[12:13], v[72:73]
	v_add_f64 v[70:71], v[90:91], -v[70:71]
	v_add_f64 v[90:91], v[40:41], v[88:89]
	v_add_f64 v[88:89], v[28:29], v[32:33]
	v_fmac_f64_e32 v[66:67], s[16:17], v[54:55]
	v_add_f64 v[62:63], v[36:37], v[106:107]
	v_fmac_f64_e32 v[110:111], s[12:13], v[54:55]
	v_add_f64 v[54:55], v[38:39], v[114:115]
	v_add_f64 v[44:45], v[96:97], v[116:117]
	v_add_f64 v[72:73], v[36:37], -v[106:107]
	v_add_f64 v[36:37], v[38:39], -v[114:115]
	;; [unrolled: 1-line block ×3, first 2 shown]
	v_fma_f64 v[88:89], -0.5, v[88:89], v[0:1]
	v_add_f64 v[96:97], v[26:27], -v[42:43]
	v_add_f64 v[58:59], v[92:93], v[66:67]
	v_add_f64 v[60:61], v[94:95], v[78:79]
	;; [unrolled: 1-line block ×4, first 2 shown]
	v_fmac_f64_e32 v[112:113], s[14:15], v[64:65]
	v_add_f64 v[76:77], v[92:93], -v[66:67]
	v_add_f64 v[78:79], v[94:95], -v[78:79]
	;; [unrolled: 1-line block ×4, first 2 shown]
	v_fma_f64 v[92:93], s[0:1], v[96:97], v[88:89]
	v_add_f64 v[98:99], v[30:31], -v[34:35]
	v_add_f64 v[94:95], v[24:25], -v[28:29]
	;; [unrolled: 1-line block ×3, first 2 shown]
	v_fmac_f64_e32 v[88:89], s[10:11], v[96:97]
	v_fmac_f64_e32 v[92:93], s[4:5], v[98:99]
	v_add_f64 v[94:95], v[100:101], v[94:95]
	v_fmac_f64_e32 v[88:89], s[12:13], v[98:99]
	v_fmac_f64_e32 v[92:93], s[14:15], v[94:95]
	;; [unrolled: 1-line block ×3, first 2 shown]
	v_add_f64 v[94:95], v[40:41], v[24:25]
	v_fmac_f64_e32 v[0:1], -0.5, v[94:95]
	v_fma_f64 v[94:95], s[10:11], v[98:99], v[0:1]
	v_fmac_f64_e32 v[0:1], s[0:1], v[98:99]
	v_fmac_f64_e32 v[94:95], s[4:5], v[96:97]
	;; [unrolled: 1-line block ×3, first 2 shown]
	v_add_f64 v[96:97], v[2:3], v[26:27]
	v_add_f64 v[96:97], v[30:31], v[96:97]
	;; [unrolled: 1-line block ×4, first 2 shown]
	v_add_f64 v[66:67], v[102:103], -v[112:113]
	v_add_f64 v[100:101], v[28:29], -v[24:25]
	v_add_f64 v[102:103], v[32:33], -v[40:41]
	v_add_f64 v[98:99], v[42:43], v[96:97]
	v_add_f64 v[96:97], v[30:31], v[34:35]
	v_add_f64 v[100:101], v[102:103], v[100:101]
	v_fma_f64 v[96:97], -0.5, v[96:97], v[2:3]
	v_add_f64 v[40:41], v[24:25], -v[40:41]
	v_fmac_f64_e32 v[94:95], s[14:15], v[100:101]
	v_fmac_f64_e32 v[0:1], s[14:15], v[100:101]
	v_fma_f64 v[24:25], s[10:11], v[40:41], v[96:97]
	v_add_f64 v[32:33], v[28:29], -v[32:33]
	v_add_f64 v[28:29], v[26:27], -v[30:31]
	;; [unrolled: 1-line block ×3, first 2 shown]
	v_fmac_f64_e32 v[96:97], s[0:1], v[40:41]
	v_fmac_f64_e32 v[24:25], s[12:13], v[32:33]
	v_add_f64 v[28:29], v[100:101], v[28:29]
	v_fmac_f64_e32 v[96:97], s[4:5], v[32:33]
	v_fmac_f64_e32 v[24:25], s[14:15], v[28:29]
	;; [unrolled: 1-line block ×3, first 2 shown]
	v_add_f64 v[28:29], v[42:43], v[26:27]
	v_add_f64 v[26:27], v[30:31], -v[26:27]
	v_add_f64 v[30:31], v[34:35], -v[42:43]
	v_fmac_f64_e32 v[2:3], -0.5, v[28:29]
	v_add_f64 v[26:27], v[30:31], v[26:27]
	v_add_f64 v[30:31], v[12:13], v[16:17]
	v_fma_f64 v[28:29], s[0:1], v[32:33], v[2:3]
	v_fmac_f64_e32 v[2:3], s[10:11], v[32:33]
	v_fma_f64 v[30:31], -0.5, v[30:31], v[4:5]
	s_waitcnt vmcnt(0)
	v_add_f64 v[32:33], v[10:11], -v[22:23]
	v_fmac_f64_e32 v[28:29], s[12:13], v[40:41]
	v_fmac_f64_e32 v[2:3], s[4:5], v[40:41]
	v_fma_f64 v[34:35], s[0:1], v[32:33], v[30:31]
	v_add_f64 v[40:41], v[18:19], -v[14:15]
	v_add_f64 v[42:43], v[8:9], -v[16:17]
	;; [unrolled: 1-line block ×3, first 2 shown]
	v_fmac_f64_e32 v[30:31], s[10:11], v[32:33]
	v_fmac_f64_e32 v[34:35], s[4:5], v[40:41]
	v_add_f64 v[42:43], v[100:101], v[42:43]
	v_fmac_f64_e32 v[30:31], s[12:13], v[40:41]
	v_fmac_f64_e32 v[34:35], s[14:15], v[42:43]
	;; [unrolled: 1-line block ×3, first 2 shown]
	v_add_f64 v[42:43], v[8:9], v[20:21]
	v_fmac_f64_e32 v[28:29], s[14:15], v[26:27]
	v_fmac_f64_e32 v[2:3], s[14:15], v[26:27]
	v_add_f64 v[26:27], v[8:9], v[4:5]
	v_fmac_f64_e32 v[4:5], -0.5, v[42:43]
	v_add_f64 v[26:27], v[16:17], v[26:27]
	v_fma_f64 v[42:43], s[10:11], v[40:41], v[4:5]
	v_add_f64 v[100:101], v[16:17], -v[8:9]
	v_add_f64 v[102:103], v[12:13], -v[20:21]
	v_fmac_f64_e32 v[4:5], s[0:1], v[40:41]
	v_add_f64 v[40:41], v[14:15], v[18:19]
	v_add_f64 v[26:27], v[12:13], v[26:27]
	v_fmac_f64_e32 v[42:43], s[4:5], v[32:33]
	v_add_f64 v[100:101], v[102:103], v[100:101]
	v_fmac_f64_e32 v[4:5], s[12:13], v[32:33]
	v_fma_f64 v[40:41], -0.5, v[40:41], v[6:7]
	v_add_f64 v[8:9], v[8:9], -v[20:21]
	v_add_f64 v[26:27], v[20:21], v[26:27]
	v_fmac_f64_e32 v[42:43], s[14:15], v[100:101]
	v_fmac_f64_e32 v[4:5], s[14:15], v[100:101]
	v_fma_f64 v[20:21], s[10:11], v[8:9], v[40:41]
	v_add_f64 v[12:13], v[16:17], -v[12:13]
	v_add_f64 v[16:17], v[10:11], -v[18:19]
	;; [unrolled: 1-line block ×3, first 2 shown]
	v_fmac_f64_e32 v[40:41], s[0:1], v[8:9]
	v_fmac_f64_e32 v[20:21], s[12:13], v[12:13]
	v_add_f64 v[16:17], v[100:101], v[16:17]
	v_fmac_f64_e32 v[40:41], s[4:5], v[12:13]
	v_add_f64 v[32:33], v[10:11], v[6:7]
	v_fmac_f64_e32 v[20:21], s[14:15], v[16:17]
	v_fmac_f64_e32 v[40:41], s[14:15], v[16:17]
	v_add_f64 v[16:17], v[10:11], v[22:23]
	v_add_f64 v[32:33], v[18:19], v[32:33]
	v_fmac_f64_e32 v[6:7], -0.5, v[16:17]
	v_add_f64 v[32:33], v[14:15], v[32:33]
	v_fma_f64 v[100:101], s[0:1], v[12:13], v[6:7]
	v_add_f64 v[10:11], v[18:19], -v[10:11]
	v_add_f64 v[14:15], v[14:15], -v[22:23]
	v_fmac_f64_e32 v[6:7], s[10:11], v[12:13]
	v_fmac_f64_e32 v[100:101], s[12:13], v[8:9]
	v_add_f64 v[10:11], v[14:15], v[10:11]
	v_fmac_f64_e32 v[6:7], s[4:5], v[8:9]
	v_fmac_f64_e32 v[100:101], s[14:15], v[10:11]
	v_fmac_f64_e32 v[6:7], s[14:15], v[10:11]
	v_add_f64 v[32:33], v[22:23], v[32:33]
	v_mul_f64 v[22:23], v[20:21], s[4:5]
	v_mul_f64 v[102:103], v[100:101], s[0:1]
	;; [unrolled: 1-line block ×3, first 2 shown]
	v_fmac_f64_e32 v[22:23], s[16:17], v[34:35]
	v_fmac_f64_e32 v[102:103], s[14:15], v[42:43]
	;; [unrolled: 1-line block ×3, first 2 shown]
	v_mul_f64 v[106:107], v[40:41], s[4:5]
	v_mul_f64 v[34:35], v[34:35], s[12:13]
	;; [unrolled: 1-line block ×3, first 2 shown]
	v_add_f64 v[14:15], v[0:1], v[104:105]
	v_fmac_f64_e32 v[106:107], s[20:21], v[30:31]
	v_fmac_f64_e32 v[34:35], s[16:17], v[20:21]
	;; [unrolled: 1-line block ×3, first 2 shown]
	v_mul_f64 v[100:101], v[6:7], s[18:19]
	v_add_f64 v[20:21], v[0:1], -v[104:105]
	v_mul_u32_u24_e32 v0, 10, v82
	v_add_f64 v[10:11], v[92:93], v[22:23]
	v_add_f64 v[16:17], v[88:89], v[106:107]
	;; [unrolled: 1-line block ×3, first 2 shown]
	v_fmac_f64_e32 v[100:101], s[10:11], v[4:5]
	v_add_f64 v[4:5], v[92:93], -v[22:23]
	v_add_f64 v[22:23], v[88:89], -v[106:107]
	;; [unrolled: 1-line block ×3, first 2 shown]
	v_lshl_add_u32 v34, v0, 3, 0
	s_movk_i32 s22, 0xffb8
	s_load_dwordx2 s[2:3], s[2:3], 0x0
	v_add_f64 v[8:9], v[90:91], v[26:27]
	v_add_f64 v[12:13], v[94:95], v[102:103]
	v_mul_f64 v[40:41], v[40:41], s[20:21]
	v_add_f64 v[18:19], v[90:91], -v[26:27]
	v_add_f64 v[6:7], v[94:95], -v[102:103]
	ds_write_b128 v34, v[56:59]
	ds_write_b128 v34, v[60:63] offset:16
	ds_write_b128 v34, v[68:71] offset:32
	;; [unrolled: 1-line block ×9, first 2 shown]
	v_mad_i32_i24 v102, v82, s22, v34
	v_add_u32_e32 v56, 0x140, v82
	v_fmac_f64_e32 v[40:41], s[12:13], v[30:31]
	v_lshl_add_u32 v106, v56, 3, 0
	v_add_u32_e32 v68, 0xe00, v102
	v_add_u32_e32 v57, 0x1800, v102
	;; [unrolled: 1-line block ×8, first 2 shown]
	s_movk_i32 s22, 0xcd
	v_add_f64 v[110:111], v[98:99], v[32:33]
	v_add_f64 v[114:115], v[28:29], v[42:43]
	v_add_f64 v[116:117], v[2:3], v[100:101]
	v_add_f64 v[118:119], v[96:97], v[40:41]
	v_add_f64 v[120:121], v[98:99], -v[32:33]
	v_add_f64 v[90:91], v[28:29], -v[42:43]
	;; [unrolled: 1-line block ×4, first 2 shown]
	s_waitcnt lgkmcnt(0)
	s_barrier
	ds_read2_b64 v[0:3], v102 offset1:160
	ds_read2_b64 v[30:33], v68 offset0:32 offset1:192
	ds_read2_b64 v[26:29], v57 offset0:32 offset1:192
	v_lshl_add_u32 v107, v86, 3, 0
	ds_read_b64 v[58:59], v106
	ds_read_b64 v[4:5], v107
	ds_read2_b64 v[22:25], v103 offset0:64 offset1:224
	ds_read2_b64 v[18:21], v104 offset1:160
	ds_read2_b64 v[14:17], v105 offset0:64 offset1:224
	ds_read2_b64 v[10:13], v108 offset1:160
	ds_read2_b64 v[6:9], v109 offset0:64 offset1:224
	ds_read2st64_b64 v[40:43], v69 offset0:17 offset1:22
	s_waitcnt lgkmcnt(0)
	s_barrier
	ds_write_b128 v34, v[48:51]
	ds_write_b128 v34, v[52:55] offset:16
	ds_write_b128 v34, v[44:47] offset:32
	;; [unrolled: 1-line block ×9, first 2 shown]
	v_mul_lo_u16_sdwa v34, v82, s22 dst_sel:DWORD dst_unused:UNUSED_PAD src0_sel:BYTE_0 src1_sel:DWORD
	v_lshrrev_b16_e32 v110, 11, v34
	v_mul_lo_u16_e32 v34, 10, v110
	v_sub_u16_e32 v87, v82, v34
	v_mov_b32_e32 v34, 9
	v_mul_u32_u24_sdwa v34, v87, v34 dst_sel:DWORD dst_unused:UNUSED_PAD src0_sel:BYTE_0 src1_sel:DWORD
	v_lshlrev_b32_e32 v113, 4, v34
	s_waitcnt lgkmcnt(0)
	s_barrier
	global_load_dwordx4 v[34:37], v113, s[8:9] offset:16
	v_add_u32_e32 v83, 0xa0, v82
	s_mov_b32 s22, 0xcccd
	v_mul_u32_u24_sdwa v38, v83, s22 dst_sel:DWORD dst_unused:UNUSED_PAD src0_sel:WORD_0 src1_sel:DWORD
	v_lshrrev_b32_e32 v111, 19, v38
	v_mul_lo_u16_e32 v38, 10, v111
	v_sub_u16_e32 v112, v83, v38
	v_mul_u32_u24_e32 v38, 9, v112
	v_lshlrev_b32_e32 v134, 4, v38
	global_load_dwordx4 v[48:51], v134, s[8:9]
	global_load_dwordx4 v[52:55], v113, s[8:9] offset:32
	global_load_dwordx4 v[60:63], v134, s[8:9] offset:16
	;; [unrolled: 1-line block ×4, first 2 shown]
	global_load_dwordx4 v[88:91], v113, s[8:9]
	global_load_dwordx4 v[92:95], v113, s[8:9] offset:48
	ds_read2_b64 v[44:47], v68 offset0:32 offset1:192
	global_load_dwordx4 v[96:99], v113, s[8:9] offset:64
	global_load_dwordx4 v[114:117], v134, s[8:9] offset:64
	;; [unrolled: 1-line block ×6, first 2 shown]
	s_waitcnt vmcnt(13) lgkmcnt(0)
	v_mul_f64 v[38:39], v[46:47], v[36:37]
	v_fmac_f64_e32 v[38:39], v[32:33], v[34:35]
	v_mul_f64 v[32:33], v[32:33], v[36:37]
	v_fma_f64 v[32:33], v[46:47], v[34:35], -v[32:33]
	ds_read2_b64 v[34:37], v57 offset0:32 offset1:192
	s_waitcnt vmcnt(12)
	v_mul_f64 v[46:47], v[44:45], v[50:51]
	v_fmac_f64_e32 v[46:47], v[30:31], v[48:49]
	v_mul_f64 v[30:31], v[30:31], v[50:51]
	v_fma_f64 v[30:31], v[44:45], v[48:49], -v[30:31]
	s_waitcnt vmcnt(11) lgkmcnt(0)
	v_mul_f64 v[100:101], v[36:37], v[54:55]
	v_fmac_f64_e32 v[100:101], v[28:29], v[52:53]
	v_mul_f64 v[28:29], v[28:29], v[54:55]
	global_load_dwordx4 v[48:51], v134, s[8:9] offset:80
	v_fma_f64 v[44:45], v[36:37], v[52:53], -v[28:29]
	ds_read2st64_b64 v[52:55], v69 offset0:17 offset1:22
	s_waitcnt vmcnt(11)
	v_mul_f64 v[70:71], v[34:35], v[62:63]
	v_fmac_f64_e32 v[70:71], v[26:27], v[60:61]
	v_mul_f64 v[26:27], v[26:27], v[62:63]
	global_load_dwordx4 v[62:65], v134, s[8:9] offset:96
	v_fma_f64 v[66:67], v[34:35], v[60:61], -v[26:27]
	s_waitcnt vmcnt(11) lgkmcnt(0)
	v_mul_f64 v[28:29], v[52:53], v[74:75]
	v_mul_f64 v[26:27], v[40:41], v[74:75]
	v_fmac_f64_e32 v[28:29], v[40:41], v[72:73]
	v_fma_f64 v[26:27], v[52:53], v[72:73], -v[26:27]
	s_waitcnt vmcnt(10)
	v_mul_f64 v[72:73], v[54:55], v[78:79]
	v_fmac_f64_e32 v[72:73], v[42:43], v[76:77]
	v_mul_f64 v[34:35], v[42:43], v[78:79]
	global_load_dwordx4 v[40:43], v134, s[8:9] offset:112
	ds_read_b64 v[36:37], v106
	ds_read_b64 v[52:53], v107
	global_load_dwordx4 v[134:137], v134, s[8:9] offset:128
	v_fma_f64 v[68:69], v[54:55], v[76:77], -v[34:35]
	s_waitcnt vmcnt(11)
	v_mul_f64 v[54:55], v[58:59], v[90:91]
	s_waitcnt lgkmcnt(1)
	v_mul_f64 v[34:35], v[36:37], v[90:91]
	s_waitcnt vmcnt(10) lgkmcnt(0)
	v_mul_f64 v[90:91], v[52:53], v[94:95]
	v_fmac_f64_e32 v[90:91], v[4:5], v[92:93]
	v_mul_f64 v[4:5], v[4:5], v[94:95]
	v_fma_f64 v[36:37], v[36:37], v[88:89], -v[54:55]
	v_fma_f64 v[92:93], v[52:53], v[92:93], -v[4:5]
	ds_read2_b64 v[52:55], v103 offset0:64 offset1:224
	s_waitcnt vmcnt(9)
	v_mul_f64 v[4:5], v[22:23], v[98:99]
	v_fmac_f64_e32 v[34:35], v[58:59], v[88:89]
	ds_read2_b64 v[76:79], v104 offset1:160
	s_waitcnt lgkmcnt(1)
	v_mul_f64 v[94:95], v[52:53], v[98:99]
	v_fmac_f64_e32 v[94:95], v[22:23], v[96:97]
	v_fma_f64 v[22:23], v[52:53], v[96:97], -v[4:5]
	s_waitcnt vmcnt(8)
	v_mul_f64 v[58:59], v[54:55], v[116:117]
	v_mul_f64 v[4:5], v[24:25], v[116:117]
	v_fmac_f64_e32 v[58:59], v[24:25], v[114:115]
	v_fma_f64 v[24:25], v[54:55], v[114:115], -v[4:5]
	ds_read2_b64 v[52:55], v105 offset0:64 offset1:224
	s_waitcnt vmcnt(7)
	v_mul_f64 v[4:5], v[18:19], v[120:121]
	s_waitcnt lgkmcnt(1)
	v_mul_f64 v[96:97], v[76:77], v[120:121]
	v_fma_f64 v[98:99], v[76:77], v[118:119], -v[4:5]
	v_fmac_f64_e32 v[96:97], v[18:19], v[118:119]
	s_waitcnt vmcnt(3)
	v_mul_f64 v[76:77], v[78:79], v[50:51]
	v_mul_f64 v[4:5], v[20:21], v[50:51]
	v_fmac_f64_e32 v[76:77], v[20:21], v[48:49]
	v_fma_f64 v[74:75], v[78:79], v[48:49], -v[4:5]
	s_waitcnt lgkmcnt(0)
	v_mul_f64 v[48:49], v[52:53], v[128:129]
	v_mul_f64 v[4:5], v[14:15], v[128:129]
	s_waitcnt vmcnt(2)
	v_mul_f64 v[60:61], v[54:55], v[64:65]
	v_fmac_f64_e32 v[48:49], v[14:15], v[126:127]
	v_fma_f64 v[50:51], v[52:53], v[126:127], -v[4:5]
	v_fmac_f64_e32 v[60:61], v[16:17], v[62:63]
	v_mul_f64 v[4:5], v[16:17], v[64:65]
	ds_read2_b64 v[14:17], v109 offset0:64 offset1:224
	ds_read2_b64 v[18:21], v108 offset1:160
	v_fma_f64 v[54:55], v[54:55], v[62:63], -v[4:5]
	v_mul_f64 v[4:5], v[10:11], v[132:133]
	s_waitcnt lgkmcnt(0)
	v_mul_f64 v[52:53], v[18:19], v[132:133]
	s_waitcnt vmcnt(0)
	v_mul_f64 v[64:65], v[16:17], v[136:137]
	v_fmac_f64_e32 v[64:65], v[8:9], v[134:135]
	v_mul_f64 v[8:9], v[8:9], v[136:137]
	v_fma_f64 v[62:63], v[16:17], v[134:135], -v[8:9]
	v_add_f64 v[8:9], v[0:1], v[38:39]
	v_mul_f64 v[88:89], v[20:21], v[42:43]
	v_add_f64 v[8:9], v[8:9], v[90:91]
	v_fmac_f64_e32 v[52:53], v[10:11], v[130:131]
	v_fmac_f64_e32 v[88:89], v[12:13], v[40:41]
	v_mul_f64 v[12:13], v[12:13], v[42:43]
	v_add_f64 v[8:9], v[8:9], v[96:97]
	v_fma_f64 v[10:11], v[18:19], v[130:131], -v[4:5]
	v_fma_f64 v[78:79], v[20:21], v[40:41], -v[12:13]
	v_add_f64 v[12:13], v[8:9], v[52:53]
	v_add_f64 v[8:9], v[90:91], v[96:97]
	v_fma_f64 v[40:41], -0.5, v[8:9], v[0:1]
	v_add_f64 v[8:9], v[32:33], -v[10:11]
	v_mul_f64 v[18:19], v[14:15], v[124:125]
	v_mul_f64 v[4:5], v[6:7], v[124:125]
	v_fma_f64 v[16:17], s[0:1], v[8:9], v[40:41]
	v_add_f64 v[20:21], v[92:93], -v[98:99]
	v_add_f64 v[42:43], v[38:39], -v[90:91]
	;; [unrolled: 1-line block ×3, first 2 shown]
	v_fmac_f64_e32 v[40:41], s[10:11], v[8:9]
	v_fmac_f64_e32 v[18:19], v[6:7], v[122:123]
	v_fma_f64 v[14:15], v[14:15], v[122:123], -v[4:5]
	ds_read2_b64 v[4:7], v102 offset1:160
	v_fmac_f64_e32 v[16:17], s[4:5], v[20:21]
	v_add_f64 v[42:43], v[42:43], v[114:115]
	v_fmac_f64_e32 v[40:41], s[12:13], v[20:21]
	v_fmac_f64_e32 v[16:17], s[14:15], v[42:43]
	v_fmac_f64_e32 v[40:41], s[14:15], v[42:43]
	v_add_f64 v[42:43], v[38:39], v[52:53]
	v_fma_f64 v[42:43], -0.5, v[42:43], v[0:1]
	v_add_f64 v[0:1], v[90:91], -v[38:39]
	v_add_f64 v[114:115], v[96:97], -v[52:53]
	v_add_f64 v[0:1], v[0:1], v[114:115]
	v_fma_f64 v[114:115], s[10:11], v[20:21], v[42:43]
	v_fmac_f64_e32 v[42:43], s[0:1], v[20:21]
	v_fmac_f64_e32 v[114:115], s[4:5], v[8:9]
	;; [unrolled: 1-line block ×5, first 2 shown]
	s_waitcnt lgkmcnt(0)
	v_add_f64 v[0:1], v[4:5], v[32:33]
	v_add_f64 v[0:1], v[0:1], v[92:93]
	;; [unrolled: 1-line block ×5, first 2 shown]
	v_fma_f64 v[118:119], -0.5, v[0:1], v[4:5]
	v_add_f64 v[0:1], v[38:39], -v[52:53]
	v_fma_f64 v[38:39], s[10:11], v[0:1], v[118:119]
	v_add_f64 v[8:9], v[90:91], -v[96:97]
	v_add_f64 v[20:21], v[32:33], -v[92:93]
	;; [unrolled: 1-line block ×3, first 2 shown]
	v_fmac_f64_e32 v[118:119], s[0:1], v[0:1]
	v_fmac_f64_e32 v[38:39], s[12:13], v[8:9]
	v_add_f64 v[20:21], v[20:21], v[52:53]
	v_fmac_f64_e32 v[118:119], s[4:5], v[8:9]
	v_fmac_f64_e32 v[38:39], s[14:15], v[20:21]
	;; [unrolled: 1-line block ×3, first 2 shown]
	v_add_f64 v[20:21], v[32:33], v[10:11]
	v_fma_f64 v[90:91], -0.5, v[20:21], v[4:5]
	v_fma_f64 v[96:97], s[0:1], v[8:9], v[90:91]
	v_add_f64 v[4:5], v[92:93], -v[32:33]
	v_add_f64 v[10:11], v[98:99], -v[10:11]
	v_fmac_f64_e32 v[90:91], s[10:11], v[8:9]
	v_fmac_f64_e32 v[96:97], s[12:13], v[0:1]
	v_add_f64 v[4:5], v[4:5], v[10:11]
	v_fmac_f64_e32 v[90:91], s[4:5], v[0:1]
	v_fmac_f64_e32 v[96:97], s[14:15], v[4:5]
	;; [unrolled: 1-line block ×3, first 2 shown]
	v_add_f64 v[4:5], v[94:95], v[48:49]
	v_fma_f64 v[10:11], -0.5, v[4:5], v[34:35]
	v_add_f64 v[4:5], v[44:45], -v[14:15]
	v_add_f64 v[20:21], v[100:101], -v[94:95]
	;; [unrolled: 1-line block ×3, first 2 shown]
	v_fma_f64 v[8:9], s[0:1], v[4:5], v[10:11]
	v_add_f64 v[20:21], v[20:21], v[32:33]
	v_add_f64 v[32:33], v[22:23], -v[50:51]
	v_fmac_f64_e32 v[10:11], s[10:11], v[4:5]
	v_add_f64 v[0:1], v[34:35], v[100:101]
	v_fmac_f64_e32 v[8:9], s[4:5], v[32:33]
	v_fmac_f64_e32 v[10:11], s[12:13], v[32:33]
	;; [unrolled: 1-line block ×4, first 2 shown]
	v_add_f64 v[20:21], v[100:101], v[18:19]
	v_add_f64 v[0:1], v[0:1], v[94:95]
	v_fmac_f64_e32 v[34:35], -0.5, v[20:21]
	v_add_f64 v[20:21], v[94:95], -v[100:101]
	v_add_f64 v[52:53], v[48:49], -v[18:19]
	v_add_f64 v[0:1], v[0:1], v[48:49]
	v_add_f64 v[20:21], v[20:21], v[52:53]
	v_fma_f64 v[52:53], s[10:11], v[32:33], v[34:35]
	v_fmac_f64_e32 v[34:35], s[0:1], v[32:33]
	v_add_f64 v[32:33], v[0:1], v[18:19]
	v_add_f64 v[0:1], v[36:37], v[44:45]
	;; [unrolled: 1-line block ×6, first 2 shown]
	v_fmac_f64_e32 v[52:53], s[4:5], v[4:5]
	v_fmac_f64_e32 v[34:35], s[12:13], v[4:5]
	v_fma_f64 v[98:99], -0.5, v[0:1], v[36:37]
	v_add_f64 v[0:1], v[100:101], -v[18:19]
	v_fmac_f64_e32 v[52:53], s[14:15], v[20:21]
	v_fmac_f64_e32 v[34:35], s[14:15], v[20:21]
	v_add_f64 v[4:5], v[94:95], -v[48:49]
	v_add_f64 v[18:19], v[44:45], -v[22:23]
	;; [unrolled: 1-line block ×3, first 2 shown]
	v_fma_f64 v[48:49], s[10:11], v[0:1], v[98:99]
	v_fmac_f64_e32 v[98:99], s[0:1], v[0:1]
	v_add_f64 v[18:19], v[18:19], v[20:21]
	v_fmac_f64_e32 v[48:49], s[12:13], v[4:5]
	v_fmac_f64_e32 v[98:99], s[4:5], v[4:5]
	;; [unrolled: 1-line block ×4, first 2 shown]
	v_add_f64 v[18:19], v[44:45], v[14:15]
	v_fmac_f64_e32 v[36:37], -0.5, v[18:19]
	v_fma_f64 v[18:19], s[0:1], v[4:5], v[36:37]
	v_add_f64 v[20:21], v[22:23], -v[44:45]
	v_add_f64 v[14:15], v[50:51], -v[14:15]
	v_fmac_f64_e32 v[36:37], s[10:11], v[4:5]
	v_add_f64 v[14:15], v[20:21], v[14:15]
	v_fmac_f64_e32 v[36:37], s[4:5], v[0:1]
	v_fmac_f64_e32 v[18:19], s[12:13], v[0:1]
	;; [unrolled: 1-line block ×4, first 2 shown]
	v_mul_f64 v[124:125], v[36:37], s[18:19]
	v_mul_f64 v[14:15], v[48:49], s[4:5]
	;; [unrolled: 1-line block ×4, first 2 shown]
	v_fmac_f64_e32 v[124:125], s[10:11], v[34:35]
	v_add_f64 v[20:21], v[12:13], v[32:33]
	v_fmac_f64_e32 v[14:15], s[16:17], v[8:9]
	v_fmac_f64_e32 v[94:95], s[14:15], v[52:53]
	;; [unrolled: 1-line block ×3, first 2 shown]
	v_mul_f64 v[120:121], v[48:49], s[16:17]
	v_mul_f64 v[122:123], v[18:19], s[14:15]
	;; [unrolled: 1-line block ×4, first 2 shown]
	v_add_f64 v[12:13], v[12:13], -v[32:33]
	v_add_f64 v[48:49], v[90:91], v[124:125]
	v_add_f64 v[32:33], v[90:91], -v[124:125]
	v_add_f64 v[90:91], v[72:73], v[76:77]
	v_add_f64 v[22:23], v[16:17], v[14:15]
	;; [unrolled: 1-line block ×3, first 2 shown]
	v_fmac_f64_e32 v[120:121], s[12:13], v[8:9]
	v_add_f64 v[8:9], v[42:43], v[100:101]
	v_fmac_f64_e32 v[18:19], s[20:21], v[10:11]
	v_fmac_f64_e32 v[34:35], s[12:13], v[10:11]
	v_add_f64 v[10:11], v[16:17], -v[14:15]
	v_add_f64 v[16:17], v[114:115], -v[94:95]
	;; [unrolled: 1-line block ×3, first 2 shown]
	v_fma_f64 v[90:91], -0.5, v[90:91], v[2:3]
	v_add_f64 v[100:101], v[66:67], -v[78:79]
	v_add_f64 v[94:95], v[70:71], -v[72:73]
	;; [unrolled: 1-line block ×3, first 2 shown]
	v_fmac_f64_e32 v[122:123], s[10:11], v[52:53]
	v_add_f64 v[50:51], v[116:117], v[92:93]
	v_add_f64 v[42:43], v[116:117], -v[92:93]
	v_fma_f64 v[92:93], s[0:1], v[100:101], v[90:91]
	v_add_f64 v[94:95], v[94:95], v[98:99]
	v_add_f64 v[98:99], v[68:69], -v[74:75]
	v_fmac_f64_e32 v[90:91], s[10:11], v[100:101]
	v_add_f64 v[4:5], v[40:41], v[18:19]
	v_add_f64 v[44:45], v[96:97], v[122:123]
	v_add_f64 v[18:19], v[40:41], -v[18:19]
	v_add_f64 v[40:41], v[96:97], -v[122:123]
	v_add_f64 v[96:97], v[2:3], v[70:71]
	v_fmac_f64_e32 v[92:93], s[4:5], v[98:99]
	v_fmac_f64_e32 v[90:91], s[12:13], v[98:99]
	;; [unrolled: 1-line block ×4, first 2 shown]
	v_add_f64 v[94:95], v[70:71], v[88:89]
	v_add_f64 v[96:97], v[96:97], v[72:73]
	v_fmac_f64_e32 v[2:3], -0.5, v[94:95]
	v_add_f64 v[94:95], v[72:73], -v[70:71]
	v_add_f64 v[114:115], v[76:77], -v[88:89]
	v_add_f64 v[96:97], v[96:97], v[76:77]
	v_add_f64 v[114:115], v[94:95], v[114:115]
	v_fma_f64 v[94:95], s[10:11], v[98:99], v[2:3]
	v_fmac_f64_e32 v[2:3], s[0:1], v[98:99]
	v_add_f64 v[98:99], v[96:97], v[88:89]
	v_add_f64 v[96:97], v[6:7], v[66:67]
	v_add_f64 v[96:97], v[96:97], v[68:69]
	v_add_f64 v[96:97], v[96:97], v[74:75]
	v_fmac_f64_e32 v[94:95], s[4:5], v[100:101]
	v_fmac_f64_e32 v[2:3], s[12:13], v[100:101]
	v_add_f64 v[100:101], v[96:97], v[78:79]
	v_add_f64 v[96:97], v[68:69], v[74:75]
	v_fmac_f64_e32 v[94:95], s[14:15], v[114:115]
	v_fmac_f64_e32 v[2:3], s[14:15], v[114:115]
	v_fma_f64 v[96:97], -0.5, v[96:97], v[6:7]
	v_add_f64 v[114:115], v[70:71], -v[88:89]
	v_add_f64 v[72:73], v[72:73], -v[76:77]
	v_add_f64 v[70:71], v[66:67], -v[68:69]
	v_add_f64 v[76:77], v[78:79], -v[74:75]
	v_add_f64 v[76:77], v[70:71], v[76:77]
	v_fma_f64 v[70:71], s[10:11], v[114:115], v[96:97]
	v_fmac_f64_e32 v[96:97], s[0:1], v[114:115]
	v_fmac_f64_e32 v[70:71], s[12:13], v[72:73]
	;; [unrolled: 1-line block ×5, first 2 shown]
	v_add_f64 v[76:77], v[66:67], v[78:79]
	v_add_f64 v[66:67], v[68:69], -v[66:67]
	v_add_f64 v[68:69], v[74:75], -v[78:79]
	v_fmac_f64_e32 v[6:7], -0.5, v[76:77]
	v_add_f64 v[66:67], v[66:67], v[68:69]
	v_add_f64 v[68:69], v[58:59], v[60:61]
	v_fma_f64 v[88:89], s[0:1], v[72:73], v[6:7]
	v_fmac_f64_e32 v[6:7], s[10:11], v[72:73]
	v_fma_f64 v[68:69], -0.5, v[68:69], v[46:47]
	v_add_f64 v[72:73], v[26:27], -v[62:63]
	v_add_f64 v[76:77], v[28:29], -v[58:59]
	;; [unrolled: 1-line block ×3, first 2 shown]
	v_fma_f64 v[74:75], s[0:1], v[72:73], v[68:69]
	v_add_f64 v[76:77], v[76:77], v[78:79]
	v_add_f64 v[78:79], v[24:25], -v[54:55]
	v_fmac_f64_e32 v[68:69], s[10:11], v[72:73]
	v_fmac_f64_e32 v[74:75], s[4:5], v[78:79]
	;; [unrolled: 1-line block ×7, first 2 shown]
	v_add_f64 v[76:77], v[28:29], v[64:65]
	v_fmac_f64_e32 v[88:89], s[14:15], v[66:67]
	v_fmac_f64_e32 v[6:7], s[14:15], v[66:67]
	v_add_f64 v[66:67], v[46:47], v[28:29]
	v_fmac_f64_e32 v[46:47], -0.5, v[76:77]
	v_add_f64 v[76:77], v[58:59], -v[28:29]
	v_add_f64 v[114:115], v[60:61], -v[64:65]
	v_add_f64 v[76:77], v[76:77], v[114:115]
	v_fma_f64 v[114:115], s[10:11], v[78:79], v[46:47]
	v_fmac_f64_e32 v[46:47], s[0:1], v[78:79]
	v_add_f64 v[66:67], v[66:67], v[58:59]
	v_fmac_f64_e32 v[114:115], s[4:5], v[72:73]
	v_fmac_f64_e32 v[46:47], s[12:13], v[72:73]
	v_add_f64 v[66:67], v[66:67], v[60:61]
	v_fmac_f64_e32 v[114:115], s[14:15], v[76:77]
	v_fmac_f64_e32 v[46:47], s[14:15], v[76:77]
	v_add_f64 v[76:77], v[24:25], v[54:55]
	v_add_f64 v[66:67], v[66:67], v[64:65]
	v_fma_f64 v[76:77], -0.5, v[76:77], v[30:31]
	v_add_f64 v[28:29], v[28:29], -v[64:65]
	v_add_f64 v[60:61], v[58:59], -v[60:61]
	;; [unrolled: 1-line block ×4, first 2 shown]
	v_add_f64 v[58:59], v[58:59], v[64:65]
	v_fma_f64 v[64:65], s[10:11], v[28:29], v[76:77]
	v_fmac_f64_e32 v[76:77], s[0:1], v[28:29]
	v_fmac_f64_e32 v[64:65], s[12:13], v[60:61]
	;; [unrolled: 1-line block ×3, first 2 shown]
	v_add_f64 v[72:73], v[30:31], v[26:27]
	v_fmac_f64_e32 v[64:65], s[14:15], v[58:59]
	v_fmac_f64_e32 v[76:77], s[14:15], v[58:59]
	v_add_f64 v[58:59], v[26:27], v[62:63]
	v_fmac_f64_e32 v[30:31], -0.5, v[58:59]
	v_add_f64 v[72:73], v[72:73], v[24:25]
	v_add_f64 v[72:73], v[72:73], v[54:55]
	v_add_f64 v[24:25], v[24:25], -v[26:27]
	v_fma_f64 v[26:27], s[0:1], v[60:61], v[30:31]
	v_add_f64 v[54:55], v[54:55], -v[62:63]
	v_fmac_f64_e32 v[30:31], s[10:11], v[60:61]
	v_fmac_f64_e32 v[26:27], s[12:13], v[28:29]
	v_add_f64 v[24:25], v[24:25], v[54:55]
	v_fmac_f64_e32 v[30:31], s[4:5], v[28:29]
	v_fmac_f64_e32 v[26:27], s[14:15], v[24:25]
	;; [unrolled: 1-line block ×3, first 2 shown]
	v_mul_f64 v[28:29], v[64:65], s[4:5]
	v_mul_f64 v[64:65], v[64:65], s[16:17]
	v_add_f64 v[78:79], v[72:73], v[62:63]
	v_fmac_f64_e32 v[28:29], s[16:17], v[74:75]
	v_mul_f64 v[54:55], v[30:31], s[0:1]
	v_mul_f64 v[72:73], v[26:27], s[0:1]
	v_fmac_f64_e32 v[64:65], s[12:13], v[74:75]
	v_mul_f64 v[74:75], v[76:77], s[4:5]
	v_mul_f64 v[26:27], v[26:27], s[14:15]
	;; [unrolled: 1-line block ×3, first 2 shown]
	v_fmac_f64_e32 v[74:75], s[20:21], v[68:69]
	v_fmac_f64_e32 v[26:27], s[10:11], v[114:115]
	;; [unrolled: 1-line block ×3, first 2 shown]
	v_add_f64 v[116:117], v[92:93], v[28:29]
	v_fmac_f64_e32 v[54:55], s[18:19], v[46:47]
	v_fmac_f64_e32 v[72:73], s[14:15], v[114:115]
	v_add_f64 v[114:115], v[90:91], v[74:75]
	v_add_f64 v[46:47], v[100:101], v[78:79]
	;; [unrolled: 1-line block ×3, first 2 shown]
	v_add_f64 v[28:29], v[92:93], -v[28:29]
	v_add_f64 v[62:63], v[6:7], v[30:31]
	v_add_f64 v[92:93], v[90:91], -v[74:75]
	v_add_f64 v[74:75], v[100:101], -v[78:79]
	;; [unrolled: 1-line block ×4, first 2 shown]
	v_mov_b32_e32 v7, 3
	v_mul_u32_u24_e32 v6, 0x320, v110
	v_lshlrev_b32_sdwa v7, v7, v87 dst_sel:DWORD dst_unused:UNUSED_PAD src0_sel:DWORD src1_sel:BYTE_0
	v_add_f64 v[24:25], v[98:99], v[66:67]
	v_add_f64 v[66:67], v[98:99], -v[66:67]
	v_add3_u32 v98, 0, v6, v7
	v_mul_f64 v[122:123], v[76:77], s[20:21]
	s_barrier
	ds_write2_b64 v98, v[20:21], v[22:23] offset1:10
	ds_write2_b64 v98, v[0:1], v[8:9] offset0:20 offset1:30
	ds_write2_b64 v98, v[4:5], v[12:13] offset0:40 offset1:50
	;; [unrolled: 1-line block ×4, first 2 shown]
	v_mul_u32_u24_e32 v0, 0x320, v111
	v_lshlrev_b32_e32 v1, 3, v112
	v_add_u32_e32 v58, 0x1e0, v82
	v_fmac_f64_e32 v[122:123], s[12:13], v[68:69]
	v_add3_u32 v99, 0, v0, v1
	v_add_f64 v[52:53], v[38:39], v[120:121]
	v_add_f64 v[36:37], v[118:119], v[34:35]
	v_add_f64 v[38:39], v[38:39], -v[120:121]
	v_add_f64 v[34:35], v[118:119], -v[34:35]
	v_add_f64 v[118:119], v[2:3], v[54:55]
	v_add_f64 v[2:3], v[2:3], -v[54:55]
	v_add_f64 v[120:121], v[94:95], v[72:73]
	;; [unrolled: 2-line block ×3, first 2 shown]
	v_add_f64 v[90:91], v[96:97], -v[122:123]
	ds_write2_b64 v99, v[24:25], v[116:117] offset1:10
	ds_write2_b64 v99, v[120:121], v[118:119] offset0:20 offset1:30
	ds_write2_b64 v99, v[114:115], v[66:67] offset0:40 offset1:50
	;; [unrolled: 1-line block ×4, first 2 shown]
	v_add_u32_e32 v87, 0x2c00, v102
	v_add_u32_e32 v97, 0x4a00, v102
	;; [unrolled: 1-line block ×5, first 2 shown]
	v_lshl_add_u32 v93, v58, 3, 0
	v_add_u32_e32 v59, 0x4000, v102
	s_movk_i32 s0, 0x64
	v_add_f64 v[54:55], v[70:71], v[64:65]
	v_add_f64 v[76:77], v[70:71], -v[64:65]
	s_waitcnt lgkmcnt(0)
	s_barrier
	ds_read2_b64 v[4:7], v102 offset1:160
	v_lshl_add_u32 v92, v82, 3, 0
	ds_read2_b64 v[24:27], v87 offset0:32 offset1:192
	ds_read2_b64 v[28:31], v97 offset0:32 offset1:192
	ds_read2st64_b64 v[0:3], v102 offset0:10 offset1:15
	ds_read2_b64 v[20:23], v96 offset0:32 offset1:192
	ds_read2_b64 v[12:15], v95 offset0:32 offset1:192
	;; [unrolled: 1-line block ×3, first 2 shown]
	ds_read_b64 v[64:65], v93
	ds_read2_b64 v[16:19], v59 offset0:32 offset1:192
	ds_read_b64 v[68:69], v92 offset:6400
	ds_read_b64 v[66:67], v106
	ds_read_b64 v[70:71], v102 offset:24320
	s_waitcnt lgkmcnt(0)
	s_barrier
	ds_write2_b64 v98, v[50:51], v[52:53] offset1:10
	ds_write2_b64 v98, v[44:45], v[48:49] offset0:20 offset1:30
	ds_write2_b64 v98, v[36:37], v[42:43] offset0:40 offset1:50
	;; [unrolled: 1-line block ×4, first 2 shown]
	ds_write2_b64 v99, v[46:47], v[54:55] offset1:10
	ds_write2_b64 v99, v[60:61], v[62:63] offset0:20 offset1:30
	ds_write2_b64 v99, v[72:73], v[74:75] offset0:40 offset1:50
	;; [unrolled: 1-line block ×4, first 2 shown]
	v_add_u32_e32 v32, 0xffffff9c, v82
	v_cmp_gt_u32_e64 s[0:1], s0, v82
	v_mov_b32_e32 v61, 0
	s_waitcnt lgkmcnt(0)
	v_cndmask_b32_e64 v89, v32, v82, s[0:1]
	v_mul_i32_i24_e32 v60, 3, v89
	v_lshl_add_u64 v[72:73], v[60:61], 4, s[8:9]
	s_barrier
	global_load_dwordx4 v[36:39], v[72:73], off offset:1456
	global_load_dwordx4 v[32:35], v[72:73], off offset:1472
	v_lshrrev_b16_e32 v40, 2, v83
	v_mul_u32_u24_e32 v40, 0x147b, v40
	v_lshrrev_b32_e32 v88, 17, v40
	v_mul_lo_u16_e32 v40, 0x64, v88
	v_add_u32_e32 v62, 0x280, v82
	v_sub_u16_e32 v83, v83, v40
	v_lshrrev_b16_e32 v44, 2, v62
	v_mul_u32_u24_e32 v40, 3, v83
	v_mul_u32_u24_e32 v44, 0x147b, v44
	v_lshlrev_b32_e32 v110, 4, v40
	v_lshrrev_b32_e32 v60, 17, v44
	global_load_dwordx4 v[40:43], v110, s[8:9] offset:1472
	v_mul_lo_u16_e32 v44, 0x64, v60
	v_lshrrev_b16_e32 v76, 2, v56
	v_sub_u16_e32 v63, v62, v44
	v_mul_u32_u24_e32 v76, 0x147b, v76
	v_mul_u32_u24_e32 v44, 3, v63
	v_lshrrev_b32_e32 v126, 17, v76
	v_lshlrev_b32_e32 v124, 4, v44
	global_load_dwordx4 v[44:47], v124, s[8:9] offset:1440
	v_mul_lo_u16_e32 v76, 0x64, v126
	v_sub_u16_e32 v127, v56, v76
	ds_read2_b64 v[48:51], v87 offset0:32 offset1:192
	ds_read2_b64 v[52:55], v97 offset0:32 offset1:192
	v_mul_u32_u24_e32 v76, 3, v127
	global_load_dwordx4 v[98:101], v[72:73], off offset:1440
	v_lshlrev_b32_e32 v122, 4, v76
	global_load_dwordx4 v[72:75], v110, s[8:9] offset:1456
	global_load_dwordx4 v[76:79], v122, s[8:9] offset:1456
	s_movk_i32 s0, 0x63
	global_load_dwordx4 v[110:113], v110, s[8:9] offset:1440
	v_cmp_lt_u32_e64 s[0:1], s0, v82
	s_movk_i32 s10, 0xc80
	s_mov_b64 s[4:5], 0x1860
	s_movk_i32 s11, 0x1000
	s_waitcnt vmcnt(7) lgkmcnt(1)
	v_mul_f64 v[90:91], v[50:51], v[38:39]
	v_fmac_f64_e32 v[90:91], v[26:27], v[36:37]
	v_mul_f64 v[26:27], v[26:27], v[38:39]
	v_fma_f64 v[26:27], v[50:51], v[36:37], -v[26:27]
	s_waitcnt vmcnt(6) lgkmcnt(0)
	v_mul_f64 v[36:37], v[52:53], v[34:35]
	v_fmac_f64_e32 v[36:37], v[28:29], v[32:33]
	v_mul_f64 v[28:29], v[28:29], v[34:35]
	v_fma_f64 v[114:115], v[52:53], v[32:33], -v[28:29]
	global_load_dwordx4 v[32:35], v122, s[8:9] offset:1440
	v_lshrrev_b16_e32 v38, 2, v58
	v_mul_u32_u24_e32 v38, 0x147b, v38
	v_lshrrev_b32_e32 v128, 17, v38
	v_mul_lo_u16_e32 v38, 0x64, v128
	s_waitcnt vmcnt(6)
	v_mul_f64 v[116:117], v[54:55], v[42:43]
	v_mul_f64 v[28:29], v[30:31], v[42:43]
	v_fmac_f64_e32 v[116:117], v[30:31], v[40:41]
	v_fma_f64 v[118:119], v[54:55], v[40:41], -v[28:29]
	ds_read2_b64 v[40:43], v96 offset0:32 offset1:192
	v_sub_u16_e32 v129, v58, v38
	global_load_dwordx4 v[28:31], v124, s[8:9] offset:1456
	s_waitcnt vmcnt(6)
	v_mul_f64 v[120:121], v[48:49], v[46:47]
	v_fmac_f64_e32 v[120:121], v[24:25], v[44:45]
	v_mul_f64 v[24:25], v[24:25], v[46:47]
	v_fma_f64 v[38:39], v[48:49], v[44:45], -v[24:25]
	global_load_dwordx4 v[44:47], v122, s[8:9] offset:1472
	v_mul_u32_u24_e32 v48, 3, v129
	v_lshlrev_b32_e32 v130, 4, v48
	s_waitcnt vmcnt(5) lgkmcnt(0)
	v_mul_f64 v[24:25], v[40:41], v[74:75]
	v_fmac_f64_e32 v[24:25], v[20:21], v[72:73]
	v_mul_f64 v[20:21], v[20:21], v[74:75]
	s_waitcnt vmcnt(4)
	v_mul_f64 v[122:123], v[42:43], v[78:79]
	v_fma_f64 v[52:53], v[40:41], v[72:73], -v[20:21]
	v_fmac_f64_e32 v[122:123], v[22:23], v[76:77]
	v_mul_f64 v[40:41], v[22:23], v[78:79]
	ds_read2_b64 v[20:23], v95 offset0:32 offset1:192
	v_fma_f64 v[48:49], v[42:43], v[76:77], -v[40:41]
	global_load_dwordx4 v[40:43], v124, s[8:9] offset:1472
	s_waitcnt vmcnt(3) lgkmcnt(0)
	v_mul_f64 v[124:125], v[20:21], v[34:35]
	v_fmac_f64_e32 v[124:125], v[12:13], v[32:33]
	v_mul_f64 v[12:13], v[12:13], v[34:35]
	v_fma_f64 v[54:55], v[20:21], v[32:33], -v[12:13]
	global_load_dwordx4 v[32:35], v130, s[8:9] offset:1440
	global_load_dwordx4 v[76:79], v130, s[8:9] offset:1456
	s_waitcnt vmcnt(1)
	v_mul_f64 v[20:21], v[22:23], v[34:35]
	v_mul_f64 v[12:13], v[14:15], v[34:35]
	v_fmac_f64_e32 v[20:21], v[14:15], v[32:33]
	v_fma_f64 v[50:51], v[22:23], v[32:33], -v[12:13]
	ds_read2_b64 v[12:15], v59 offset0:32 offset1:192
	v_mul_f64 v[32:33], v[68:69], v[100:101]
	s_waitcnt lgkmcnt(0)
	v_mul_f64 v[22:23], v[14:15], v[30:31]
	v_fmac_f64_e32 v[22:23], v[18:19], v[28:29]
	v_mul_f64 v[18:19], v[18:19], v[30:31]
	v_fma_f64 v[74:75], v[14:15], v[28:29], -v[18:19]
	s_waitcnt vmcnt(0)
	v_mul_f64 v[28:29], v[12:13], v[78:79]
	v_fmac_f64_e32 v[28:29], v[16:17], v[76:77]
	v_mul_f64 v[14:15], v[16:17], v[78:79]
	global_load_dwordx4 v[16:19], v130, s[8:9] offset:1472
	v_fma_f64 v[72:73], v[12:13], v[76:77], -v[14:15]
	ds_read2_b64 v[12:15], v94 offset0:32 offset1:192
	s_waitcnt lgkmcnt(0)
	v_mul_f64 v[30:31], v[12:13], v[46:47]
	v_fmac_f64_e32 v[30:31], v[8:9], v[44:45]
	v_mul_f64 v[8:9], v[8:9], v[46:47]
	v_fma_f64 v[8:9], v[12:13], v[44:45], -v[8:9]
	s_waitcnt vmcnt(0)
	v_mul_f64 v[12:13], v[14:15], v[18:19]
	v_fmac_f64_e32 v[12:13], v[10:11], v[16:17]
	v_mul_f64 v[10:11], v[10:11], v[18:19]
	ds_read_b64 v[18:19], v92 offset:6400
	v_fma_f64 v[10:11], v[14:15], v[16:17], -v[10:11]
	ds_read_b64 v[14:15], v102 offset:24320
	ds_read_b64 v[76:77], v93
	ds_read_b64 v[78:79], v106
	s_waitcnt lgkmcnt(3)
	v_mul_f64 v[16:17], v[18:19], v[100:101]
	v_fma_f64 v[18:19], v[18:19], v[98:99], -v[32:33]
	ds_read2st64_b64 v[32:35], v102 offset0:10 offset1:15
	s_waitcnt lgkmcnt(3)
	v_mul_f64 v[44:45], v[14:15], v[42:43]
	v_mul_f64 v[42:43], v[70:71], v[42:43]
	v_fmac_f64_e32 v[44:45], v[70:71], v[40:41]
	v_fma_f64 v[14:15], v[14:15], v[40:41], -v[42:43]
	s_waitcnt lgkmcnt(0)
	v_mul_f64 v[40:41], v[34:35], v[112:113]
	v_fmac_f64_e32 v[40:41], v[2:3], v[110:111]
	v_mul_f64 v[2:3], v[2:3], v[112:113]
	v_fmac_f64_e32 v[16:17], v[68:69], v[98:99]
	v_fma_f64 v[68:69], v[34:35], v[110:111], -v[2:3]
	v_mov_b32_e32 v34, 0xc80
	v_cndmask_b32_e64 v34, 0, v34, s[0:1]
	v_lshlrev_b32_e32 v35, 3, v89
	v_add_f64 v[42:43], v[16:17], -v[36:37]
	v_add3_u32 v130, 0, v34, v35
	ds_read2_b64 v[34:37], v102 offset1:160
	v_add_f64 v[2:3], v[4:5], -v[90:91]
	v_fma_f64 v[4:5], v[4:5], 2.0, -v[2:3]
	v_add_f64 v[46:47], v[18:19], -v[114:115]
	v_fma_f64 v[16:17], v[16:17], 2.0, -v[42:43]
	v_add_f64 v[16:17], v[4:5], -v[16:17]
	v_add_f64 v[70:71], v[2:3], v[46:47]
	v_fma_f64 v[4:5], v[4:5], 2.0, -v[16:17]
	v_fma_f64 v[2:3], v[2:3], 2.0, -v[70:71]
	s_waitcnt lgkmcnt(0)
	s_barrier
	ds_write2_b64 v130, v[4:5], v[2:3] offset1:100
	v_add_u32_e32 v131, 0x400, v130
	v_add_f64 v[4:5], v[34:35], -v[26:27]
	ds_write2_b64 v131, v[16:17], v[70:71] offset0:72 offset1:172
	v_fma_f64 v[2:3], v[18:19], 2.0, -v[46:47]
	v_add_f64 v[16:17], v[6:7], -v[24:25]
	v_fma_f64 v[18:19], v[34:35], 2.0, -v[4:5]
	v_add_f64 v[100:101], v[40:41], -v[116:117]
	;; [unrolled: 2-line block ×4, first 2 shown]
	v_add_f64 v[2:3], v[6:7], -v[2:3]
	v_fma_f64 v[98:99], v[4:5], 2.0, -v[90:91]
	v_add_f64 v[110:111], v[68:69], -v[118:119]
	v_fma_f64 v[4:5], v[6:7], 2.0, -v[2:3]
	v_add_f64 v[6:7], v[0:1], -v[22:23]
	v_mul_u32_u24_e32 v22, 0xc80, v88
	v_lshlrev_b32_e32 v23, 3, v83
	v_add_f64 v[26:27], v[64:65], -v[28:29]
	v_fma_f64 v[70:71], v[18:19], 2.0, -v[34:35]
	v_add_f64 v[18:19], v[16:17], v[110:111]
	v_add3_u32 v83, 0, v22, v23
	v_fma_f64 v[28:29], v[64:65], 2.0, -v[26:27]
	v_add_f64 v[64:65], v[20:21], -v[12:13]
	s_mov_b32 s0, 0x5040100
	v_fma_f64 v[16:17], v[16:17], 2.0, -v[18:19]
	v_add_f64 v[116:117], v[50:51], -v[10:11]
	v_fma_f64 v[10:11], v[20:21], 2.0, -v[64:65]
	v_add_u32_e32 v118, 0x400, v83
	v_perm_b32 v20, v128, v126, s0
	ds_write2_b64 v83, v[4:5], v[16:17] offset1:100
	v_add_f64 v[16:17], v[66:67], -v[122:123]
	ds_write2_b64 v118, v[2:3], v[18:19] offset0:72 offset1:172
	v_add_f64 v[2:3], v[26:27], v[116:117]
	v_pk_mul_lo_u16 v20, v20, s10 op_sel_hi:[1,0]
	v_fma_f64 v[22:23], v[66:67], 2.0, -v[16:17]
	v_add_f64 v[66:67], v[124:125], -v[30:31]
	v_fma_f64 v[18:19], v[26:27], 2.0, -v[2:3]
	v_and_b32_e32 v21, 0xff80, v20
	v_lshlrev_b32_e32 v26, 3, v127
	v_add_f64 v[112:113], v[120:121], -v[44:45]
	v_add_f64 v[88:89], v[54:55], -v[8:9]
	v_fma_f64 v[8:9], v[124:125], 2.0, -v[66:67]
	v_add3_u32 v119, 0, v21, v26
	v_add_f64 v[114:115], v[38:39], -v[14:15]
	v_fma_f64 v[14:15], v[120:121], 2.0, -v[112:113]
	v_add_f64 v[8:9], v[22:23], -v[8:9]
	v_add_f64 v[24:25], v[16:17], v[88:89]
	v_add_u32_e32 v120, 0x400, v119
	v_fma_f64 v[22:23], v[22:23], 2.0, -v[8:9]
	ds_write2_b64 v120, v[8:9], v[24:25] offset0:72 offset1:172
	v_lshrrev_b32_e32 v8, 16, v20
	v_lshlrev_b32_e32 v9, 3, v129
	v_add3_u32 v121, 0, v8, v9
	v_fma_f64 v[16:17], v[16:17], 2.0, -v[24:25]
	v_add_f64 v[10:11], v[28:29], -v[10:11]
	v_add_u32_e32 v122, 0x400, v121
	v_fma_f64 v[0:1], v[0:1], 2.0, -v[6:7]
	ds_write2_b64 v119, v[22:23], v[16:17] offset1:100
	ds_write2_b64 v122, v[10:11], v[2:3] offset0:72 offset1:172
	v_mul_u32_u24_e32 v2, 0xc80, v60
	v_lshlrev_b32_e32 v3, 3, v63
	v_add_f64 v[14:15], v[0:1], -v[14:15]
	v_add_f64 v[4:5], v[6:7], v[114:115]
	v_add3_u32 v60, 0, v2, v3
	v_fma_f64 v[0:1], v[0:1], 2.0, -v[14:15]
	v_fma_f64 v[6:7], v[6:7], 2.0, -v[4:5]
	;; [unrolled: 1-line block ×3, first 2 shown]
	v_add_u32_e32 v63, 0x400, v60
	ds_write2_b64 v121, v[12:13], v[18:19] offset1:100
	ds_write2_b64 v60, v[0:1], v[6:7] offset1:100
	ds_write2_b64 v63, v[14:15], v[4:5] offset0:72 offset1:172
	s_waitcnt lgkmcnt(0)
	s_barrier
	ds_read2_b64 v[4:7], v102 offset1:160
	ds_read2_b64 v[8:11], v87 offset0:32 offset1:192
	ds_read2_b64 v[28:31], v97 offset0:32 offset1:192
	ds_read2st64_b64 v[0:3], v102 offset0:10 offset1:15
	ds_read2_b64 v[20:23], v96 offset0:32 offset1:192
	ds_read_b64 v[40:41], v93
	ds_read_b64 v[46:47], v92 offset:6400
	ds_read_b64 v[42:43], v106
	ds_read_b64 v[44:45], v102 offset:24320
	ds_read2_b64 v[24:27], v95 offset0:32 offset1:192
	ds_read2_b64 v[16:19], v94 offset0:32 offset1:192
	;; [unrolled: 1-line block ×3, first 2 shown]
	s_waitcnt lgkmcnt(0)
	s_barrier
	ds_write2_b64 v130, v[70:71], v[98:99] offset1:100
	v_add_f64 v[70:71], v[32:33], -v[74:75]
	v_add_f64 v[52:53], v[36:37], -v[52:53]
	v_fma_f64 v[32:33], v[32:33], 2.0, -v[70:71]
	v_fma_f64 v[38:39], v[38:39], 2.0, -v[114:115]
	v_add_f64 v[48:49], v[78:79], -v[48:49]
	v_add_f64 v[72:73], v[76:77], -v[72:73]
	v_fma_f64 v[36:37], v[36:37], 2.0, -v[52:53]
	v_fma_f64 v[68:69], v[68:69], 2.0, -v[110:111]
	;; [unrolled: 1-line block ×3, first 2 shown]
	v_add_f64 v[38:39], v[32:33], -v[38:39]
	v_fma_f64 v[78:79], v[78:79], 2.0, -v[48:49]
	v_fma_f64 v[76:77], v[76:77], 2.0, -v[72:73]
	;; [unrolled: 1-line block ×3, first 2 shown]
	v_add_f64 v[68:69], v[36:37], -v[68:69]
	v_add_f64 v[74:75], v[52:53], -v[100:101]
	v_fma_f64 v[32:33], v[32:33], 2.0, -v[38:39]
	v_add_f64 v[88:89], v[70:71], -v[112:113]
	v_add_f64 v[54:55], v[78:79], -v[54:55]
	;; [unrolled: 1-line block ×5, first 2 shown]
	v_fma_f64 v[36:37], v[36:37], 2.0, -v[68:69]
	v_fma_f64 v[52:53], v[52:53], 2.0, -v[74:75]
	;; [unrolled: 1-line block ×7, first 2 shown]
	ds_write2_b64 v131, v[34:35], v[90:91] offset0:72 offset1:172
	ds_write2_b64 v83, v[36:37], v[52:53] offset1:100
	ds_write2_b64 v118, v[68:69], v[74:75] offset0:72 offset1:172
	ds_write2_b64 v119, v[78:79], v[48:49] offset1:100
	;; [unrolled: 2-line block ×4, first 2 shown]
	ds_write2_b64 v63, v[38:39], v[88:89] offset0:72 offset1:172
	v_mul_u32_u24_e32 v32, 3, v82
	v_lshlrev_b32_e32 v60, 4, v32
	v_lshl_add_u64 v[48:49], s[8:9], 0, v[60:61]
	v_lshl_add_u64 v[50:51], v[48:49], 0, s[4:5]
	s_waitcnt lgkmcnt(0)
	s_barrier
	global_load_dwordx4 v[64:67], v[50:51], off offset:32
	s_mov_b64 s[0:1], 0x3660
	v_lshl_add_u64 v[52:53], v[48:49], 0, s[0:1]
	global_load_dwordx4 v[32:35], v[52:53], off offset:32
	global_load_dwordx4 v[36:39], v[52:53], off offset:16
	s_movk_i32 s0, 0x50
	v_add_u32_e32 v52, 0xffffffb0, v82
	v_cmp_gt_u32_e64 s[0:1], s0, v82
	v_mov_b32_e32 v55, v61
	s_nop 0
	v_cndmask_b32_e64 v52, v52, v56, s[0:1]
	v_lshl_add_u32 v54, v52, 1, v52
	v_lshl_add_u64 v[54:55], v[54:55], 4, s[8:9]
	v_lshl_add_u64 v[98:99], v[54:55], 0, s[4:5]
	global_load_dwordx4 v[68:71], v[98:99], off offset:16
	v_add_co_u32_e64 v54, s[0:1], s11, v54
	s_nop 1
	v_addc_co_u32_e64 v55, s[0:1], 0, v55, s[0:1]
	global_load_dwordx4 v[72:75], v[54:55], off offset:2144
	v_add_u32_e32 v54, 0xf00, v60
	v_mov_b32_e32 v55, v61
	v_lshl_add_u64 v[54:55], s[8:9], 0, v[54:55]
	v_add_co_u32_e64 v100, s[0:1], s11, v54
	v_add_u32_e32 v60, 0x2d00, v60
	s_nop 0
	v_addc_co_u32_e64 v101, s[0:1], 0, v55, s[0:1]
	global_load_dwordx4 v[76:79], v[100:101], off offset:2144
	global_load_dwordx4 v[88:91], v[98:99], off offset:32
	ds_read2_b64 v[98:101], v97 offset0:32 offset1:192
	v_lshl_add_u64 v[54:55], v[54:55], 0, s[4:5]
	global_load_dwordx4 v[110:113], v[54:55], off offset:32
	global_load_dwordx4 v[114:117], v[50:51], off offset:16
	s_movk_i32 s0, 0x3000
	ds_read2_b64 v[118:121], v95 offset0:32 offset1:192
	s_waitcnt vmcnt(8) lgkmcnt(1)
	v_mul_f64 v[50:51], v[98:99], v[66:67]
	v_fmac_f64_e32 v[50:51], v[28:29], v[64:65]
	v_mul_f64 v[28:29], v[28:29], v[66:67]
	v_fma_f64 v[28:29], v[98:99], v[64:65], -v[28:29]
	ds_read2_b64 v[64:67], v96 offset0:32 offset1:192
	v_add_co_u32_e64 v96, s[0:1], s0, v48
	s_waitcnt vmcnt(7)
	v_mul_f64 v[122:123], v[100:101], v[34:35]
	v_addc_co_u32_e64 v97, s[0:1], 0, v49, s[0:1]
	v_fmac_f64_e32 v[122:123], v[30:31], v[32:33]
	v_mul_f64 v[30:31], v[30:31], v[34:35]
	v_fma_f64 v[100:101], v[100:101], v[32:33], -v[30:31]
	v_add_co_u32_e64 v30, s[0:1], s11, v48
	s_waitcnt vmcnt(5) lgkmcnt(0)
	v_mul_f64 v[124:125], v[66:67], v[70:71]
	v_addc_co_u32_e64 v31, s[0:1], 0, v49, s[0:1]
	v_mul_f64 v[48:49], v[64:65], v[38:39]
	v_fmac_f64_e32 v[48:49], v[20:21], v[36:37]
	v_mul_f64 v[20:21], v[20:21], v[38:39]
	v_fma_f64 v[38:39], v[64:65], v[36:37], -v[20:21]
	v_lshl_add_u64 v[64:65], s[8:9], 0, v[60:61]
	v_add_co_u32_e64 v20, s[0:1], s11, v64
	v_fmac_f64_e32 v[124:125], v[22:23], v[68:69]
	s_nop 0
	v_addc_co_u32_e64 v21, s[0:1], 0, v65, s[0:1]
	v_mul_f64 v[34:35], v[22:23], v[70:71]
	global_load_dwordx4 v[20:23], v[20:21], off offset:2144
	v_fma_f64 v[126:127], v[66:67], v[68:69], -v[34:35]
	global_load_dwordx4 v[96:99], v[96:97], off offset:1632
	s_waitcnt vmcnt(5)
	v_mul_f64 v[128:129], v[120:121], v[78:79]
	global_load_dwordx4 v[34:37], v[54:55], off offset:16
	v_mul_f64 v[54:55], v[118:119], v[74:75]
	v_fmac_f64_e32 v[54:55], v[24:25], v[72:73]
	v_mul_f64 v[24:25], v[24:25], v[74:75]
	v_fma_f64 v[118:119], v[118:119], v[72:73], -v[24:25]
	v_lshl_add_u64 v[24:25], v[64:65], 0, s[4:5]
	global_load_dwordx4 v[30:33], v[30:31], off offset:2144
	v_fmac_f64_e32 v[128:129], v[26:27], v[76:77]
	global_load_dwordx4 v[64:67], v[24:25], off offset:16
	v_mul_f64 v[68:69], v[26:27], v[78:79]
	global_load_dwordx4 v[24:27], v[24:25], off offset:32
	v_fma_f64 v[76:77], v[120:121], v[76:77], -v[68:69]
	ds_read2_b64 v[68:71], v94 offset0:32 offset1:192
	ds_read2_b64 v[72:75], v87 offset0:32 offset1:192
	s_movk_i32 s0, 0x4f
	v_cmp_lt_u32_e64 s[0:1], s0, v82
	v_add_u32_e32 v60, 0x4c00, v92
	s_waitcnt vmcnt(8) lgkmcnt(1)
	v_mul_f64 v[78:79], v[68:69], v[90:91]
	v_fmac_f64_e32 v[78:79], v[16:17], v[88:89]
	v_mul_f64 v[16:17], v[16:17], v[90:91]
	v_fma_f64 v[68:69], v[68:69], v[88:89], -v[16:17]
	s_waitcnt vmcnt(7)
	v_mul_f64 v[88:89], v[70:71], v[112:113]
	v_mul_f64 v[16:17], v[18:19], v[112:113]
	v_fmac_f64_e32 v[88:89], v[18:19], v[110:111]
	v_fma_f64 v[70:71], v[70:71], v[110:111], -v[16:17]
	ds_read2_b64 v[16:19], v59 offset0:32 offset1:192
	s_waitcnt vmcnt(6) lgkmcnt(1)
	v_mul_f64 v[90:91], v[74:75], v[116:117]
	v_fmac_f64_e32 v[90:91], v[10:11], v[114:115]
	v_mul_f64 v[10:11], v[10:11], v[116:117]
	v_fma_f64 v[74:75], v[74:75], v[114:115], -v[10:11]
	v_add_f64 v[68:69], v[118:119], -v[68:69]
	v_add_u32_e32 v59, 0xc00, v102
	s_waitcnt vmcnt(5)
	v_mul_f64 v[94:95], v[72:73], v[22:23]
	v_fmac_f64_e32 v[94:95], v[8:9], v[20:21]
	v_mul_f64 v[8:9], v[8:9], v[22:23]
	v_fma_f64 v[20:21], v[72:73], v[20:21], -v[8:9]
	s_waitcnt vmcnt(3) lgkmcnt(0)
	v_mul_f64 v[22:23], v[16:17], v[36:37]
	v_fmac_f64_e32 v[22:23], v[12:13], v[34:35]
	v_mul_f64 v[12:13], v[12:13], v[36:37]
	v_fma_f64 v[16:17], v[16:17], v[34:35], -v[12:13]
	ds_read_b64 v[34:35], v92 offset:6400
	ds_read2_b64 v[8:11], v102 offset1:160
	v_add_f64 v[22:23], v[40:41], -v[22:23]
	s_waitcnt vmcnt(1)
	v_mul_f64 v[36:37], v[18:19], v[66:67]
	v_mul_f64 v[12:13], v[14:15], v[66:67]
	s_waitcnt lgkmcnt(1)
	v_mul_f64 v[72:73], v[34:35], v[32:33]
	v_mul_f64 v[32:33], v[46:47], v[32:33]
	v_fmac_f64_e32 v[36:37], v[14:15], v[64:65]
	v_fma_f64 v[18:19], v[18:19], v[64:65], -v[12:13]
	ds_read2st64_b64 v[12:15], v102 offset0:10 offset1:15
	ds_read_b64 v[64:65], v93
	ds_read_b64 v[66:67], v106
	v_fmac_f64_e32 v[72:73], v[46:47], v[30:31]
	v_fma_f64 v[30:31], v[34:35], v[30:31], -v[32:33]
	ds_read_b64 v[32:33], v102 offset:24320
	s_waitcnt lgkmcnt(3)
	v_mul_f64 v[46:47], v[14:15], v[98:99]
	v_fmac_f64_e32 v[46:47], v[2:3], v[96:97]
	v_mul_f64 v[2:3], v[2:3], v[98:99]
	v_fma_f64 v[2:3], v[14:15], v[96:97], -v[2:3]
	s_waitcnt vmcnt(0) lgkmcnt(0)
	v_mul_f64 v[14:15], v[32:33], v[26:27]
	v_mul_f64 v[26:27], v[44:45], v[26:27]
	v_fmac_f64_e32 v[14:15], v[44:45], v[24:25]
	v_fma_f64 v[24:25], v[32:33], v[24:25], -v[26:27]
	v_add_f64 v[26:27], v[4:5], -v[90:91]
	v_add_f64 v[44:45], v[8:9], -v[74:75]
	;; [unrolled: 1-line block ×4, first 2 shown]
	v_fma_f64 v[4:5], v[4:5], 2.0, -v[26:27]
	v_fma_f64 v[8:9], v[8:9], 2.0, -v[44:45]
	;; [unrolled: 1-line block ×4, first 2 shown]
	v_add_f64 v[50:51], v[4:5], -v[32:33]
	v_add_f64 v[32:33], v[8:9], -v[30:31]
	v_fma_f64 v[72:73], v[8:9], 2.0, -v[32:33]
	v_add_f64 v[8:9], v[26:27], v[28:29]
	v_add_f64 v[28:29], v[6:7], -v[48:49]
	v_add_f64 v[30:31], v[10:11], -v[38:39]
	;; [unrolled: 1-line block ×3, first 2 shown]
	v_fma_f64 v[6:7], v[6:7], 2.0, -v[28:29]
	v_add_f64 v[48:49], v[2:3], -v[100:101]
	v_fma_f64 v[46:47], v[46:47], 2.0, -v[38:39]
	v_fma_f64 v[10:11], v[10:11], 2.0, -v[30:31]
	;; [unrolled: 1-line block ×3, first 2 shown]
	v_add_f64 v[46:47], v[6:7], -v[46:47]
	v_add_f64 v[74:75], v[10:11], -v[2:3]
	v_fma_f64 v[2:3], v[6:7], 2.0, -v[46:47]
	v_add_f64 v[6:7], v[28:29], v[48:49]
	v_add_f64 v[48:49], v[30:31], -v[38:39]
	v_fma_f64 v[90:91], v[10:11], 2.0, -v[74:75]
	v_fma_f64 v[10:11], v[28:29], 2.0, -v[6:7]
	;; [unrolled: 1-line block ×3, first 2 shown]
	v_add_f64 v[28:29], v[42:43], -v[124:125]
	v_add_f64 v[30:31], v[66:67], -v[126:127]
	v_fma_f64 v[38:39], v[42:43], 2.0, -v[28:29]
	v_fma_f64 v[42:43], v[66:67], 2.0, -v[30:31]
	v_add_f64 v[66:67], v[54:55], -v[78:79]
	v_add_f64 v[98:99], v[30:31], -v[66:67]
	;; [unrolled: 1-line block ×3, first 2 shown]
	v_fma_f64 v[100:101], v[30:31], 2.0, -v[98:99]
	v_fma_f64 v[30:31], v[40:41], 2.0, -v[22:23]
	;; [unrolled: 1-line block ×3, first 2 shown]
	v_add_f64 v[64:65], v[128:129], -v[88:89]
	v_fma_f64 v[4:5], v[4:5], 2.0, -v[50:51]
	v_add_f64 v[88:89], v[16:17], -v[64:65]
	v_fma_f64 v[54:55], v[54:55], 2.0, -v[66:67]
	v_fma_f64 v[110:111], v[16:17], 2.0, -v[88:89]
	v_add_f64 v[16:17], v[0:1], -v[36:37]
	v_add_f64 v[18:19], v[12:13], -v[18:19]
	;; [unrolled: 1-line block ×4, first 2 shown]
	s_barrier
	ds_write2_b64 v102, v[4:5], v[2:3] offset1:160
	v_mov_b32_e32 v2, 0x3200
	v_fma_f64 v[26:27], v[26:27], 2.0, -v[8:9]
	v_add_f64 v[54:55], v[38:39], -v[54:55]
	v_add_f64 v[66:67], v[76:77], -v[70:71]
	v_fma_f64 v[70:71], v[128:129], 2.0, -v[64:65]
	v_fma_f64 v[0:1], v[0:1], 2.0, -v[16:17]
	;; [unrolled: 1-line block ×5, first 2 shown]
	v_cndmask_b32_e64 v2, 0, v2, s[0:1]
	v_lshlrev_b32_e32 v3, 3, v52
	v_fma_f64 v[78:79], v[118:119], 2.0, -v[68:69]
	v_fma_f64 v[38:39], v[38:39], 2.0, -v[54:55]
	v_add_f64 v[68:69], v[28:29], v[68:69]
	v_add_f64 v[70:71], v[30:31], -v[70:71]
	v_add_f64 v[36:37], v[0:1], -v[36:37]
	;; [unrolled: 1-line block ×3, first 2 shown]
	ds_write2_b64 v59, v[26:27], v[10:11] offset0:16 offset1:176
	ds_write2_b64 v57, v[50:51], v[46:47] offset0:32 offset1:192
	v_add_u32_e32 v46, 0x2400, v102
	v_add3_u32 v47, 0, v2, v3
	v_fma_f64 v[28:29], v[28:29], 2.0, -v[68:69]
	v_fma_f64 v[76:77], v[76:77], 2.0, -v[66:67]
	v_add_f64 v[66:67], v[22:23], v[66:67]
	v_fma_f64 v[0:1], v[0:1], 2.0, -v[36:37]
	v_fma_f64 v[112:113], v[12:13], 2.0, -v[94:95]
	v_add_f64 v[12:13], v[16:17], v[24:25]
	ds_write2_b64 v46, v[8:9], v[6:7] offset0:48 offset1:208
	ds_write_b64 v47, v[38:39]
	ds_write_b64 v47, v[28:29] offset:3200
	ds_write_b64 v47, v[54:55] offset:6400
	;; [unrolled: 1-line block ×3, first 2 shown]
	ds_write2_b64 v60, v[70:71], v[36:37] offset0:48 offset1:208
	v_add_u32_e32 v36, 0x5800, v92
	v_fma_f64 v[30:31], v[30:31], 2.0, -v[70:71]
	v_fma_f64 v[22:23], v[22:23], 2.0, -v[66:67]
	v_add_f64 v[114:115], v[18:19], -v[14:15]
	v_fma_f64 v[14:15], v[16:17], 2.0, -v[12:13]
	v_add_u32_e32 v50, 0x3400, v92
	v_add_u32_e32 v51, 0x4000, v92
	ds_write2_b64 v36, v[66:67], v[12:13] offset0:64 offset1:224
	v_add_u32_e32 v66, 0x100, v92
	v_fma_f64 v[116:117], v[18:19], 2.0, -v[114:115]
	ds_write2_b64 v50, v[30:31], v[0:1] offset0:16 offset1:176
	ds_write2_b64 v51, v[22:23], v[14:15] offset0:32 offset1:192
	s_waitcnt lgkmcnt(0)
	s_barrier
	ds_read2_b64 v[0:3], v102 offset1:160
	ds_read2_b64 v[4:7], v103 offset0:64 offset1:224
	ds_read2_b64 v[8:11], v104 offset1:160
	ds_read2st64_b64 v[12:15], v102 offset0:10 offset1:15
	ds_read2_b64 v[16:19], v105 offset0:64 offset1:224
	ds_read2st64_b64 v[20:23], v66 offset0:12 offset1:17
	ds_read2_b64 v[24:27], v108 offset1:160
	ds_read_b64 v[54:55], v106
	ds_read_b64 v[52:53], v107
	ds_read2_b64 v[28:31], v109 offset0:64 offset1:224
	ds_read_b64 v[64:65], v93
	ds_read_b64 v[38:39], v92 offset:11520
	v_add_f64 v[34:35], v[44:45], -v[34:35]
	v_add_f64 v[78:79], v[42:43], -v[78:79]
	;; [unrolled: 1-line block ×3, first 2 shown]
	v_fma_f64 v[44:45], v[44:45], 2.0, -v[34:35]
	v_fma_f64 v[42:43], v[42:43], 2.0, -v[78:79]
	;; [unrolled: 1-line block ×3, first 2 shown]
	s_waitcnt lgkmcnt(0)
	s_barrier
	ds_write2_b64 v102, v[72:73], v[90:91] offset1:160
	ds_write2_b64 v59, v[44:45], v[96:97] offset0:16 offset1:176
	ds_write2_b64 v57, v[32:33], v[74:75] offset0:32 offset1:192
	;; [unrolled: 1-line block ×3, first 2 shown]
	ds_write_b64 v47, v[42:43]
	ds_write_b64 v47, v[100:101] offset:3200
	ds_write_b64 v47, v[78:79] offset:6400
	;; [unrolled: 1-line block ×3, first 2 shown]
	ds_write2_b64 v50, v[40:41], v[112:113] offset0:16 offset1:176
	ds_write2_b64 v51, v[110:111], v[116:117] offset0:32 offset1:192
	;; [unrolled: 1-line block ×4, first 2 shown]
	s_waitcnt lgkmcnt(0)
	s_barrier
	s_and_saveexec_b64 s[0:1], vcc
	s_cbranch_execz .LBB0_15
; %bb.14:
	v_add_u32_e32 v60, 0x5a0, v82
	v_lshl_add_u64 v[32:33], v[60:61], 4, s[8:9]
	s_movk_i32 s0, 0x6000
	v_add_co_u32_e32 v32, vcc, s0, v32
	v_mov_b32_e32 v87, v61
	s_nop 0
	v_addc_co_u32_e32 v33, vcc, 0, v33, vcc
	v_lshl_add_u64 v[36:37], v[86:87], 4, s[8:9]
	global_load_dwordx4 v[32:35], v[32:33], off offset:864
	v_add_co_u32_e32 v36, vcc, s0, v36
	v_mov_b32_e32 v63, v61
	s_nop 0
	v_addc_co_u32_e32 v37, vcc, 0, v37, vcc
	global_load_dwordx4 v[42:45], v[36:37], off offset:864
	v_add_u32_e32 v36, 0x460, v82
	v_mov_b32_e32 v37, v61
	v_lshl_add_u64 v[36:37], v[36:37], 4, s[8:9]
	v_add_co_u32_e32 v36, vcc, s0, v36
	v_mov_b32_e32 v59, v61
	s_nop 0
	v_addc_co_u32_e32 v37, vcc, 0, v37, vcc
	global_load_dwordx4 v[48:51], v[36:37], off offset:864
	v_add_u32_e32 v36, 0x3c0, v82
	v_mov_b32_e32 v37, v61
	v_lshl_add_u64 v[36:37], v[36:37], 4, s[8:9]
	;; [unrolled: 8-line block ×3, first 2 shown]
	v_add_co_u32_e32 v36, vcc, s0, v36
	v_mov_b32_e32 v83, v61
	s_nop 0
	v_addc_co_u32_e32 v37, vcc, 0, v37, vcc
	global_load_dwordx4 v[72:75], v[36:37], off offset:864
	v_lshl_add_u64 v[36:37], v[62:63], 4, s[8:9]
	v_add_co_u32_e32 v36, vcc, s0, v36
	v_mul_lo_u32 v40, s3, v84
	s_nop 0
	v_addc_co_u32_e32 v37, vcc, 0, v37, vcc
	global_load_dwordx4 v[76:79], v[36:37], off offset:864
	v_lshl_add_u64 v[36:37], v[58:59], 4, s[8:9]
	v_add_co_u32_e32 v36, vcc, s0, v36
	v_mul_lo_u32 v41, s2, v85
	s_nop 0
	v_addc_co_u32_e32 v37, vcc, 0, v37, vcc
	global_load_dwordx4 v[86:89], v[36:37], off offset:864
	v_lshl_add_u64 v[36:37], v[56:57], 4, s[8:9]
	v_add_co_u32_e32 v36, vcc, s0, v36
	v_mad_u64_u32 v[122:123], s[2:3], s2, v84, 0
	s_nop 0
	v_addc_co_u32_e32 v37, vcc, 0, v37, vcc
	global_load_dwordx4 v[56:59], v[36:37], off offset:864
	v_lshl_add_u64 v[36:37], v[82:83], 4, s[8:9]
	v_add_co_u32_e32 v36, vcc, s0, v36
	v_add3_u32 v123, v123, v41, v40
	s_nop 0
	v_addc_co_u32_e32 v37, vcc, 0, v37, vcc
	global_load_dwordx4 v[94:97], v[36:37], off offset:3424
	ds_read2_b64 v[98:101], v109 offset0:64 offset1:224
	ds_read_b64 v[62:63], v93
	global_load_dwordx4 v[110:113], v[36:37], off offset:864
	ds_read_b64 v[46:47], v92 offset:11520
	ds_read_b64 v[124:125], v106
	ds_read_b64 v[84:85], v107
	s_mov_b32 s1, 0x51eb851f
	s_waitcnt vmcnt(9)
	v_mul_f64 v[36:37], v[30:31], v[34:35]
	s_waitcnt lgkmcnt(4)
	v_mul_f64 v[34:35], v[100:101], v[34:35]
	v_fmac_f64_e32 v[34:35], v[30:31], v[32:33]
	v_add_f64 v[30:31], v[38:39], -v[34:35]
	v_fma_f64 v[36:37], v[32:33], v[100:101], -v[36:37]
	v_fma_f64 v[34:35], v[38:39], 2.0, -v[30:31]
	s_waitcnt vmcnt(8)
	v_mul_f64 v[40:41], v[28:29], v[44:45]
	v_fma_f64 v[40:41], v[42:43], v[98:99], -v[40:41]
	v_mul_f64 v[38:39], v[98:99], v[44:45]
	ds_read2_b64 v[90:93], v108 offset1:160
	ds_read2st64_b64 v[98:101], v66 offset0:12 offset1:17
	v_fmac_f64_e32 v[38:39], v[28:29], v[42:43]
	ds_read2st64_b64 v[106:109], v102 offset0:10 offset1:15
	ds_read2_b64 v[118:121], v105 offset0:64 offset1:224
	s_waitcnt lgkmcnt(6)
	v_add_f64 v[32:33], v[46:47], -v[36:37]
	s_waitcnt lgkmcnt(4)
	v_add_f64 v[40:41], v[84:85], -v[40:41]
	s_waitcnt vmcnt(7) lgkmcnt(3)
	v_mul_f64 v[42:43], v[92:93], v[50:51]
	v_fmac_f64_e32 v[42:43], v[26:27], v[48:49]
	v_mul_f64 v[28:29], v[26:27], v[50:51]
	v_add_f64 v[26:27], v[22:23], -v[42:43]
	v_fma_f64 v[50:51], v[22:23], 2.0, -v[26:27]
	v_fma_f64 v[28:29], v[48:49], v[92:93], -v[28:29]
	v_fma_f64 v[36:37], v[46:47], 2.0, -v[32:33]
	v_fma_f64 v[46:47], v[84:85], 2.0, -v[40:41]
	v_add_f64 v[38:39], v[52:53], -v[38:39]
	s_waitcnt vmcnt(6)
	v_mul_f64 v[22:23], v[24:25], v[70:71]
	v_fma_f64 v[22:23], v[68:69], v[90:91], -v[22:23]
	s_waitcnt lgkmcnt(1)
	v_add_f64 v[92:93], v[108:109], -v[22:23]
	v_mul_f64 v[22:23], v[90:91], v[70:71]
	v_fmac_f64_e32 v[22:23], v[24:25], v[68:69]
	v_add_f64 v[90:91], v[14:15], -v[22:23]
	v_fma_f64 v[114:115], v[14:15], 2.0, -v[90:91]
	v_fma_f64 v[116:117], v[108:109], 2.0, -v[92:93]
	v_add_f64 v[28:29], v[100:101], -v[28:29]
	s_waitcnt vmcnt(5)
	v_mul_f64 v[14:15], v[18:19], v[74:75]
	s_waitcnt lgkmcnt(0)
	v_fma_f64 v[14:15], v[72:73], v[120:121], -v[14:15]
	v_add_f64 v[24:25], v[98:99], -v[14:15]
	v_mul_f64 v[14:15], v[120:121], v[74:75]
	v_fmac_f64_e32 v[14:15], v[18:19], v[72:73]
	ds_read2_b64 v[70:73], v104 offset1:160
	v_add_f64 v[22:23], v[20:21], -v[14:15]
	v_fma_f64 v[66:67], v[20:21], 2.0, -v[22:23]
	s_waitcnt vmcnt(4)
	v_mul_f64 v[20:21], v[118:119], v[78:79]
	v_fmac_f64_e32 v[20:21], v[16:17], v[76:77]
	v_mul_f64 v[14:15], v[16:17], v[78:79]
	v_add_f64 v[16:17], v[12:13], -v[20:21]
	v_fma_f64 v[68:69], v[98:99], 2.0, -v[24:25]
	v_fma_f64 v[14:15], v[76:77], v[118:119], -v[14:15]
	s_waitcnt vmcnt(3)
	v_mul_f64 v[20:21], v[10:11], v[88:89]
	s_waitcnt lgkmcnt(0)
	v_fma_f64 v[20:21], v[86:87], v[72:73], -v[20:21]
	v_add_f64 v[74:75], v[62:63], -v[20:21]
	v_mul_f64 v[20:21], v[72:73], v[88:89]
	v_fmac_f64_e32 v[20:21], v[10:11], v[86:87]
	v_add_f64 v[72:73], v[64:65], -v[20:21]
	v_fma_f64 v[78:79], v[62:63], 2.0, -v[74:75]
	v_fma_f64 v[76:77], v[64:65], 2.0, -v[72:73]
	s_waitcnt vmcnt(2)
	v_mul_f64 v[10:11], v[8:9], v[58:59]
	v_mul_f64 v[20:21], v[70:71], v[58:59]
	v_fma_f64 v[10:11], v[56:57], v[70:71], -v[10:11]
	v_fmac_f64_e32 v[20:21], v[8:9], v[56:57]
	ds_read2_b64 v[56:59], v103 offset0:64 offset1:224
	ds_read2_b64 v[84:87], v102 offset1:160
	v_add_f64 v[8:9], v[54:55], -v[20:21]
	v_add_f64 v[10:11], v[124:125], -v[10:11]
	s_waitcnt vmcnt(1)
	v_mul_f64 v[20:21], v[6:7], v[96:97]
	s_waitcnt lgkmcnt(1)
	v_fma_f64 v[20:21], v[94:95], v[58:59], -v[20:21]
	s_waitcnt lgkmcnt(0)
	v_add_f64 v[88:89], v[86:87], -v[20:21]
	v_mul_f64 v[20:21], v[58:59], v[96:97]
	v_fmac_f64_e32 v[20:21], v[6:7], v[94:95]
	v_fma_f64 v[98:99], v[86:87], 2.0, -v[88:89]
	v_add_f64 v[86:87], v[2:3], -v[20:21]
	s_waitcnt vmcnt(0)
	v_mul_f64 v[20:21], v[56:57], v[112:113]
	v_fmac_f64_e32 v[20:21], v[4:5], v[110:111]
	v_fma_f64 v[96:97], v[2:3], 2.0, -v[86:87]
	v_mul_f64 v[2:3], v[4:5], v[112:113]
	v_add_f64 v[4:5], v[0:1], -v[20:21]
	v_mul_hi_u32 v20, v82, s1
	v_lshrrev_b32_e32 v20, 9, v20
	v_mul_u32_u24_e32 v20, 0x640, v20
	v_fma_f64 v[2:3], v[110:111], v[56:57], -v[2:3]
	v_sub_u32_e32 v42, v82, v20
	v_lshl_add_u64 v[20:21], v[122:123], 4, s[6:7]
	v_add_f64 v[6:7], v[84:85], -v[2:3]
	v_lshl_add_u64 v[20:21], v[80:81], 4, v[20:21]
	v_lshlrev_b32_e32 v60, 4, v42
	v_fma_f64 v[2:3], v[84:85], 2.0, -v[6:7]
	v_fma_f64 v[0:1], v[0:1], 2.0, -v[4:5]
	v_lshl_add_u64 v[42:43], v[20:21], 0, v[60:61]
	global_store_dwordx4 v[42:43], v[0:3], off
	v_fma_f64 v[64:65], v[124:125], 2.0, -v[10:11]
	v_fma_f64 v[62:63], v[54:55], 2.0, -v[8:9]
	v_add_co_u32_e32 v0, vcc, s0, v42
	v_add_f64 v[18:19], v[106:107], -v[14:15]
	s_nop 0
	v_addc_co_u32_e32 v1, vcc, 0, v43, vcc
	global_store_dwordx4 v[0:1], v[4:7], off offset:1024
	v_add_u32_e32 v0, 0xa0, v82
	v_mul_hi_u32 v1, v0, s1
	v_lshrrev_b32_e32 v1, 9, v1
	v_mul_u32_u24_e32 v2, 0x640, v1
	v_sub_u32_e32 v0, v0, v2
	v_mad_u32_u24 v60, v1, s10, v0
	v_lshl_add_u64 v[0:1], v[60:61], 4, v[20:21]
	v_add_u32_e32 v60, 0x640, v60
	global_store_dwordx4 v[0:1], v[96:99], off
	v_lshl_add_u64 v[0:1], v[60:61], 4, v[20:21]
	global_store_dwordx4 v[0:1], v[86:89], off
	v_add_u32_e32 v0, 0x140, v82
	v_mul_hi_u32 v1, v0, s1
	v_lshrrev_b32_e32 v1, 9, v1
	v_mul_u32_u24_e32 v2, 0x640, v1
	v_sub_u32_e32 v0, v0, v2
	v_mad_u32_u24 v60, v1, s10, v0
	v_lshl_add_u64 v[0:1], v[60:61], 4, v[20:21]
	v_add_u32_e32 v60, 0x640, v60
	global_store_dwordx4 v[0:1], v[62:65], off
	v_lshl_add_u64 v[0:1], v[60:61], 4, v[20:21]
	global_store_dwordx4 v[0:1], v[8:11], off
	;; [unrolled: 11-line block ×3, first 2 shown]
	v_add_u32_e32 v0, 0x280, v82
	v_mul_hi_u32 v1, v0, s1
	v_lshrrev_b32_e32 v1, 9, v1
	v_mul_u32_u24_e32 v2, 0x640, v1
	v_sub_u32_e32 v0, v0, v2
	v_mad_u32_u24 v60, v1, s10, v0
	v_fma_f64 v[14:15], v[106:107], 2.0, -v[18:19]
	v_fma_f64 v[12:13], v[12:13], 2.0, -v[16:17]
	v_lshl_add_u64 v[0:1], v[60:61], 4, v[20:21]
	v_add_u32_e32 v60, 0x640, v60
	global_store_dwordx4 v[0:1], v[12:15], off
	v_lshl_add_u64 v[0:1], v[60:61], 4, v[20:21]
	global_store_dwordx4 v[0:1], v[16:19], off
	v_add_u32_e32 v0, 0x320, v82
	v_mul_hi_u32 v1, v0, s1
	v_lshrrev_b32_e32 v1, 9, v1
	v_mul_u32_u24_e32 v2, 0x640, v1
	v_sub_u32_e32 v0, v0, v2
	v_mad_u32_u24 v60, v1, s10, v0
	v_lshl_add_u64 v[0:1], v[60:61], 4, v[20:21]
	v_add_u32_e32 v60, 0x640, v60
	global_store_dwordx4 v[0:1], v[66:69], off
	v_lshl_add_u64 v[0:1], v[60:61], 4, v[20:21]
	global_store_dwordx4 v[0:1], v[22:25], off
	v_add_u32_e32 v0, 0x3c0, v82
	v_mul_hi_u32 v1, v0, s1
	v_lshrrev_b32_e32 v1, 9, v1
	v_mul_u32_u24_e32 v2, 0x640, v1
	v_sub_u32_e32 v0, v0, v2
	v_mad_u32_u24 v60, v1, s10, v0
	;; [unrolled: 11-line block ×3, first 2 shown]
	v_fma_f64 v[44:45], v[52:53], 2.0, -v[38:39]
	v_fma_f64 v[52:53], v[100:101], 2.0, -v[28:29]
	v_lshl_add_u64 v[0:1], v[60:61], 4, v[20:21]
	v_add_u32_e32 v60, 0x640, v60
	global_store_dwordx4 v[0:1], v[50:53], off
	v_lshl_add_u64 v[0:1], v[60:61], 4, v[20:21]
	global_store_dwordx4 v[0:1], v[26:29], off
	v_add_u32_e32 v0, 0x500, v82
	v_mul_hi_u32 v1, v0, s1
	v_lshrrev_b32_e32 v1, 9, v1
	v_mul_u32_u24_e32 v2, 0x640, v1
	v_sub_u32_e32 v0, v0, v2
	v_mad_u32_u24 v60, v1, s10, v0
	v_lshl_add_u64 v[0:1], v[60:61], 4, v[20:21]
	v_add_u32_e32 v60, 0x640, v60
	global_store_dwordx4 v[0:1], v[44:47], off
	v_lshl_add_u64 v[0:1], v[60:61], 4, v[20:21]
	global_store_dwordx4 v[0:1], v[38:41], off
	v_add_u32_e32 v0, 0x5a0, v82
	v_mul_hi_u32 v1, v0, s1
	v_lshrrev_b32_e32 v1, 9, v1
	v_mul_u32_u24_e32 v2, 0x640, v1
	v_sub_u32_e32 v0, v0, v2
	v_mad_u32_u24 v60, v1, s10, v0
	v_lshl_add_u64 v[0:1], v[60:61], 4, v[20:21]
	v_add_u32_e32 v60, 0x640, v60
	global_store_dwordx4 v[0:1], v[34:37], off
	v_lshl_add_u64 v[0:1], v[60:61], 4, v[20:21]
	global_store_dwordx4 v[0:1], v[30:33], off
.LBB0_15:
	s_endpgm
	.section	.rodata,"a",@progbits
	.p2align	6, 0x0
	.amdhsa_kernel fft_rtc_back_len3200_factors_10_10_4_4_2_wgs_160_tpt_160_halfLds_dp_op_CI_CI_unitstride_sbrr_dirReg
		.amdhsa_group_segment_fixed_size 0
		.amdhsa_private_segment_fixed_size 0
		.amdhsa_kernarg_size 104
		.amdhsa_user_sgpr_count 2
		.amdhsa_user_sgpr_dispatch_ptr 0
		.amdhsa_user_sgpr_queue_ptr 0
		.amdhsa_user_sgpr_kernarg_segment_ptr 1
		.amdhsa_user_sgpr_dispatch_id 0
		.amdhsa_user_sgpr_kernarg_preload_length 0
		.amdhsa_user_sgpr_kernarg_preload_offset 0
		.amdhsa_user_sgpr_private_segment_size 0
		.amdhsa_uses_dynamic_stack 0
		.amdhsa_enable_private_segment 0
		.amdhsa_system_sgpr_workgroup_id_x 1
		.amdhsa_system_sgpr_workgroup_id_y 0
		.amdhsa_system_sgpr_workgroup_id_z 0
		.amdhsa_system_sgpr_workgroup_info 0
		.amdhsa_system_vgpr_workitem_id 0
		.amdhsa_next_free_vgpr 138
		.amdhsa_next_free_sgpr 28
		.amdhsa_accum_offset 140
		.amdhsa_reserve_vcc 1
		.amdhsa_float_round_mode_32 0
		.amdhsa_float_round_mode_16_64 0
		.amdhsa_float_denorm_mode_32 3
		.amdhsa_float_denorm_mode_16_64 3
		.amdhsa_dx10_clamp 1
		.amdhsa_ieee_mode 1
		.amdhsa_fp16_overflow 0
		.amdhsa_tg_split 0
		.amdhsa_exception_fp_ieee_invalid_op 0
		.amdhsa_exception_fp_denorm_src 0
		.amdhsa_exception_fp_ieee_div_zero 0
		.amdhsa_exception_fp_ieee_overflow 0
		.amdhsa_exception_fp_ieee_underflow 0
		.amdhsa_exception_fp_ieee_inexact 0
		.amdhsa_exception_int_div_zero 0
	.end_amdhsa_kernel
	.text
.Lfunc_end0:
	.size	fft_rtc_back_len3200_factors_10_10_4_4_2_wgs_160_tpt_160_halfLds_dp_op_CI_CI_unitstride_sbrr_dirReg, .Lfunc_end0-fft_rtc_back_len3200_factors_10_10_4_4_2_wgs_160_tpt_160_halfLds_dp_op_CI_CI_unitstride_sbrr_dirReg
                                        ; -- End function
	.section	.AMDGPU.csdata,"",@progbits
; Kernel info:
; codeLenInByte = 13556
; NumSgprs: 34
; NumVgprs: 138
; NumAgprs: 0
; TotalNumVgprs: 138
; ScratchSize: 0
; MemoryBound: 1
; FloatMode: 240
; IeeeMode: 1
; LDSByteSize: 0 bytes/workgroup (compile time only)
; SGPRBlocks: 4
; VGPRBlocks: 17
; NumSGPRsForWavesPerEU: 34
; NumVGPRsForWavesPerEU: 138
; AccumOffset: 140
; Occupancy: 3
; WaveLimiterHint : 1
; COMPUTE_PGM_RSRC2:SCRATCH_EN: 0
; COMPUTE_PGM_RSRC2:USER_SGPR: 2
; COMPUTE_PGM_RSRC2:TRAP_HANDLER: 0
; COMPUTE_PGM_RSRC2:TGID_X_EN: 1
; COMPUTE_PGM_RSRC2:TGID_Y_EN: 0
; COMPUTE_PGM_RSRC2:TGID_Z_EN: 0
; COMPUTE_PGM_RSRC2:TIDIG_COMP_CNT: 0
; COMPUTE_PGM_RSRC3_GFX90A:ACCUM_OFFSET: 34
; COMPUTE_PGM_RSRC3_GFX90A:TG_SPLIT: 0
	.text
	.p2alignl 6, 3212836864
	.fill 256, 4, 3212836864
	.type	__hip_cuid_caac149a0d50d5bf,@object ; @__hip_cuid_caac149a0d50d5bf
	.section	.bss,"aw",@nobits
	.globl	__hip_cuid_caac149a0d50d5bf
__hip_cuid_caac149a0d50d5bf:
	.byte	0                               ; 0x0
	.size	__hip_cuid_caac149a0d50d5bf, 1

	.ident	"AMD clang version 19.0.0git (https://github.com/RadeonOpenCompute/llvm-project roc-6.4.0 25133 c7fe45cf4b819c5991fe208aaa96edf142730f1d)"
	.section	".note.GNU-stack","",@progbits
	.addrsig
	.addrsig_sym __hip_cuid_caac149a0d50d5bf
	.amdgpu_metadata
---
amdhsa.kernels:
  - .agpr_count:     0
    .args:
      - .actual_access:  read_only
        .address_space:  global
        .offset:         0
        .size:           8
        .value_kind:     global_buffer
      - .offset:         8
        .size:           8
        .value_kind:     by_value
      - .actual_access:  read_only
        .address_space:  global
        .offset:         16
        .size:           8
        .value_kind:     global_buffer
      - .actual_access:  read_only
        .address_space:  global
        .offset:         24
        .size:           8
        .value_kind:     global_buffer
      - .actual_access:  read_only
        .address_space:  global
        .offset:         32
        .size:           8
        .value_kind:     global_buffer
      - .offset:         40
        .size:           8
        .value_kind:     by_value
      - .actual_access:  read_only
        .address_space:  global
        .offset:         48
        .size:           8
        .value_kind:     global_buffer
      - .actual_access:  read_only
        .address_space:  global
        .offset:         56
        .size:           8
        .value_kind:     global_buffer
      - .offset:         64
        .size:           4
        .value_kind:     by_value
      - .actual_access:  read_only
        .address_space:  global
        .offset:         72
        .size:           8
        .value_kind:     global_buffer
      - .actual_access:  read_only
        .address_space:  global
        .offset:         80
        .size:           8
        .value_kind:     global_buffer
      - .actual_access:  read_only
        .address_space:  global
        .offset:         88
        .size:           8
        .value_kind:     global_buffer
      - .actual_access:  write_only
        .address_space:  global
        .offset:         96
        .size:           8
        .value_kind:     global_buffer
    .group_segment_fixed_size: 0
    .kernarg_segment_align: 8
    .kernarg_segment_size: 104
    .language:       OpenCL C
    .language_version:
      - 2
      - 0
    .max_flat_workgroup_size: 160
    .name:           fft_rtc_back_len3200_factors_10_10_4_4_2_wgs_160_tpt_160_halfLds_dp_op_CI_CI_unitstride_sbrr_dirReg
    .private_segment_fixed_size: 0
    .sgpr_count:     34
    .sgpr_spill_count: 0
    .symbol:         fft_rtc_back_len3200_factors_10_10_4_4_2_wgs_160_tpt_160_halfLds_dp_op_CI_CI_unitstride_sbrr_dirReg.kd
    .uniform_work_group_size: 1
    .uses_dynamic_stack: false
    .vgpr_count:     138
    .vgpr_spill_count: 0
    .wavefront_size: 64
amdhsa.target:   amdgcn-amd-amdhsa--gfx950
amdhsa.version:
  - 1
  - 2
...

	.end_amdgpu_metadata
